;; amdgpu-corpus repo=ROCm/rocFFT kind=compiled arch=gfx1100 opt=O3
	.text
	.amdgcn_target "amdgcn-amd-amdhsa--gfx1100"
	.amdhsa_code_object_version 6
	.protected	bluestein_single_back_len686_dim1_half_op_CI_CI ; -- Begin function bluestein_single_back_len686_dim1_half_op_CI_CI
	.globl	bluestein_single_back_len686_dim1_half_op_CI_CI
	.p2align	8
	.type	bluestein_single_back_len686_dim1_half_op_CI_CI,@function
bluestein_single_back_len686_dim1_half_op_CI_CI: ; @bluestein_single_back_len686_dim1_half_op_CI_CI
; %bb.0:
	s_load_b128 s[16:19], s[0:1], 0x28
	v_mul_u32_u24_e32 v1, 0x53a, v0
	s_mov_b32 s2, exec_lo
	v_mov_b32_e32 v13, 0
	s_delay_alu instid0(VALU_DEP_2) | instskip(NEXT) | instid1(VALU_DEP_1)
	v_lshrrev_b32_e32 v1, 16, v1
	v_add_nc_u32_e32 v12, s15, v1
	s_waitcnt lgkmcnt(0)
	s_delay_alu instid0(VALU_DEP_1)
	v_cmpx_gt_u64_e64 s[16:17], v[12:13]
	s_cbranch_execz .LBB0_2
; %bb.1:
	s_clause 0x1
	s_load_b128 s[8:11], s[0:1], 0x18
	s_load_b128 s[4:7], s[0:1], 0x0
	v_mul_lo_u16 v1, v1, 49
	s_load_b64 s[0:1], s[0:1], 0x38
	s_mov_b32 s26, 0x515a4f1d
	s_mov_b32 s27, 0x3f57e225
	s_delay_alu instid0(VALU_DEP_1) | instskip(NEXT) | instid1(VALU_DEP_1)
	v_sub_nc_u16 v0, v0, v1
	v_and_b32_e32 v24, 0xffff, v0
	s_delay_alu instid0(VALU_DEP_1)
	v_add_co_u32 v18, null, v24, 49
	s_waitcnt lgkmcnt(0)
	s_load_b128 s[12:15], s[8:9], 0x0
	s_add_u32 s2, s4, 0xab8
	s_addc_u32 s3, s5, 0
	s_waitcnt lgkmcnt(0)
	v_mad_u64_u32 v[1:2], null, s14, v12, 0
	v_mad_u64_u32 v[3:4], null, s12, v24, 0
	s_mul_i32 s8, s13, 0x188
	s_mul_hi_u32 s9, s12, 0x188
	s_mul_i32 s14, s12, 0x188
	s_add_i32 s9, s9, s8
	s_mul_i32 s8, s13, 0xfffff794
	s_delay_alu instid0(VALU_DEP_1) | instskip(SKIP_2) | instid1(VALU_DEP_2)
	v_mad_u64_u32 v[5:6], null, s15, v12, v[2:3]
	v_lshlrev_b32_e32 v23, 2, v24
	s_sub_i32 s8, s8, s12
	v_mov_b32_e32 v2, v5
	v_mad_u64_u32 v[6:7], null, s13, v24, v[4:5]
	s_clause 0x9
	global_load_b32 v26, v23, s[4:5]
	global_load_b32 v30, v23, s[4:5] offset:1568
	global_load_b32 v39, v23, s[4:5] offset:1372
	;; [unrolled: 1-line block ×9, first 2 shown]
	v_lshlrev_b64 v[1:2], 2, v[1:2]
	s_clause 0x3
	global_load_b32 v32, v23, s[4:5] offset:2352
	global_load_b32 v35, v23, s[4:5] offset:2156
	global_load_b32 v33, v23, s[4:5] offset:1960
	global_load_b32 v37, v23, s[4:5] offset:1764
	v_add_nc_u32_e32 v53, 0x400, v23
	v_dual_mov_b32 v4, v6 :: v_dual_add_nc_u32 v55, 0x800, v23
	v_add_nc_u32_e32 v54, 0x600, v23
	v_add_co_u32 v1, vcc_lo, s18, v1
	v_add_co_ci_u32_e32 v2, vcc_lo, s19, v2, vcc_lo
	s_delay_alu instid0(VALU_DEP_4) | instskip(NEXT) | instid1(VALU_DEP_1)
	v_lshlrev_b64 v[3:4], 2, v[3:4]
	v_add_co_u32 v1, vcc_lo, v1, v3
	s_delay_alu instid0(VALU_DEP_2) | instskip(NEXT) | instid1(VALU_DEP_2)
	v_add_co_ci_u32_e32 v2, vcc_lo, v2, v4, vcc_lo
	v_add_co_u32 v3, vcc_lo, v1, s14
	s_delay_alu instid0(VALU_DEP_2)
	v_add_co_ci_u32_e32 v4, vcc_lo, s9, v2, vcc_lo
	s_clause 0x1
	global_load_b32 v7, v[1:2], off
	global_load_b32 v8, v[3:4], off
	v_add_co_u32 v1, vcc_lo, v3, s14
	v_add_co_ci_u32_e32 v2, vcc_lo, s9, v4, vcc_lo
	s_delay_alu instid0(VALU_DEP_2) | instskip(NEXT) | instid1(VALU_DEP_2)
	v_add_co_u32 v3, vcc_lo, v1, s14
	v_add_co_ci_u32_e32 v4, vcc_lo, s9, v2, vcc_lo
	s_clause 0x1
	global_load_b32 v9, v[1:2], off
	global_load_b32 v10, v[3:4], off
	v_add_co_u32 v1, vcc_lo, v3, s14
	v_add_co_ci_u32_e32 v2, vcc_lo, s9, v4, vcc_lo
	s_delay_alu instid0(VALU_DEP_2) | instskip(NEXT) | instid1(VALU_DEP_2)
	v_add_co_u32 v5, vcc_lo, v1, s14
	v_add_co_ci_u32_e32 v6, vcc_lo, s9, v2, vcc_lo
	global_load_b32 v11, v[1:2], off
	v_add_co_u32 v3, vcc_lo, v5, s14
	v_add_co_ci_u32_e32 v4, vcc_lo, s9, v6, vcc_lo
	global_load_b32 v5, v[5:6], off
	v_mad_u64_u32 v[1:2], null, 0xfffff794, s12, v[3:4]
	global_load_b32 v6, v[3:4], off
	v_add_nc_u32_e32 v2, s8, v2
	global_load_b32 v13, v[1:2], off
	v_add_co_u32 v1, vcc_lo, v1, s14
	v_add_co_ci_u32_e32 v2, vcc_lo, s9, v2, vcc_lo
	global_load_b32 v14, v[1:2], off
	v_add_co_u32 v1, vcc_lo, v1, s14
	v_add_co_ci_u32_e32 v2, vcc_lo, s9, v2, vcc_lo
	s_delay_alu instid0(VALU_DEP_2) | instskip(NEXT) | instid1(VALU_DEP_2)
	v_add_co_u32 v3, vcc_lo, v1, s14
	v_add_co_ci_u32_e32 v4, vcc_lo, s9, v2, vcc_lo
	global_load_b32 v15, v[1:2], off
	v_add_co_u32 v1, vcc_lo, v3, s14
	v_add_co_ci_u32_e32 v2, vcc_lo, s9, v4, vcc_lo
	global_load_b32 v16, v[3:4], off
	;; [unrolled: 3-line block ×4, first 2 shown]
	global_load_b32 v1, v[1:2], off
	v_and_b32_e32 v2, 0xff, v0
	v_and_b32_e32 v3, 0xff, v18
	s_load_b128 s[28:31], s[10:11], 0x0
	s_delay_alu instid0(VALU_DEP_2) | instskip(NEXT) | instid1(VALU_DEP_2)
	v_mul_lo_u16 v2, v2, 37
	v_mul_lo_u16 v3, v3, 37
	s_delay_alu instid0(VALU_DEP_2) | instskip(NEXT) | instid1(VALU_DEP_2)
	v_lshrrev_b16 v2, 8, v2
	v_lshrrev_b16 v3, 8, v3
	s_delay_alu instid0(VALU_DEP_2) | instskip(NEXT) | instid1(VALU_DEP_2)
	v_sub_nc_u16 v19, v0, v2
	v_sub_nc_u16 v20, v18, v3
	s_delay_alu instid0(VALU_DEP_2) | instskip(NEXT) | instid1(VALU_DEP_2)
	v_lshrrev_b16 v19, 1, v19
	v_lshrrev_b16 v20, 1, v20
	s_waitcnt lgkmcnt(0)
	s_mul_i32 s25, s28, 0x188
	s_delay_alu instid0(VALU_DEP_2) | instskip(NEXT) | instid1(VALU_DEP_2)
	v_and_b32_e32 v19, 0x7f, v19
	v_and_b32_e32 v20, 0x7f, v20
	s_delay_alu instid0(VALU_DEP_2) | instskip(NEXT) | instid1(VALU_DEP_2)
	v_add_nc_u16 v2, v19, v2
	v_add_nc_u16 v3, v20, v3
	v_mul_lo_u16 v19, v0, 7
	s_delay_alu instid0(VALU_DEP_3) | instskip(NEXT) | instid1(VALU_DEP_3)
	v_lshrrev_b16 v2, 2, v2
	v_lshrrev_b16 v3, 2, v3
	s_delay_alu instid0(VALU_DEP_2) | instskip(NEXT) | instid1(VALU_DEP_2)
	v_mul_lo_u16 v20, v2, 7
	v_mul_lo_u16 v21, v3, 7
	s_delay_alu instid0(VALU_DEP_2) | instskip(NEXT) | instid1(VALU_DEP_2)
	v_sub_nc_u16 v0, v0, v20
	v_sub_nc_u16 v20, v18, v21
	v_mul_u32_u24_e32 v18, 7, v18
	s_delay_alu instid0(VALU_DEP_3) | instskip(NEXT) | instid1(VALU_DEP_2)
	v_and_b32_e32 v0, 0xff, v0
	v_lshlrev_b32_e32 v76, 2, v18
	s_waitcnt vmcnt(25)
	v_lshrrev_b32_e32 v42, 16, v39
	s_waitcnt vmcnt(24)
	v_lshrrev_b32_e32 v49, 16, v31
	s_waitcnt vmcnt(23)
	v_lshrrev_b32_e32 v44, 16, v41
	s_waitcnt vmcnt(22)
	v_lshrrev_b32_e32 v50, 16, v27
	s_waitcnt vmcnt(21)
	v_lshrrev_b32_e32 v45, 16, v43
	v_lshrrev_b32_e32 v52, 16, v26
	s_waitcnt vmcnt(20)
	v_lshrrev_b32_e32 v51, 16, v28
	v_lshrrev_b32_e32 v48, 16, v30
	s_waitcnt vmcnt(15)
	v_lshrrev_b32_e32 v29, 16, v33
	v_lshrrev_b32_e32 v25, 16, v32
	v_lshrrev_b32_e32 v47, 16, v46
	s_waitcnt vmcnt(14)
	v_lshrrev_b32_e32 v40, 16, v37
	;; [unrolled: 4-line block ×3, first 2 shown]
	v_mul_f16_e32 v22, v52, v7
	s_waitcnt vmcnt(12)
	v_lshrrev_b32_e32 v57, 16, v8
	v_mul_f16_e32 v58, v51, v8
	v_mul_f16_e32 v56, v52, v21
	v_fma_f16 v21, v26, v21, -v22
	s_delay_alu instid0(VALU_DEP_2)
	v_fmac_f16_e32 v56, v26, v7
	v_mul_f16_e32 v7, v51, v57
	v_fma_f16 v57, v28, v57, -v58
	s_waitcnt vmcnt(11)
	v_lshrrev_b32_e32 v22, 16, v9
	v_mul_f16_e32 v58, v50, v9
	v_pack_b32_f16 v21, v56, v21
	v_fmac_f16_e32 v7, v28, v8
	s_waitcnt vmcnt(10)
	v_lshrrev_b32_e32 v56, 16, v10
	v_mul_f16_e32 v8, v50, v22
	v_fma_f16 v22, v27, v22, -v58
	v_mul_f16_e32 v58, v49, v10
	v_pack_b32_f16 v7, v7, v57
	s_delay_alu instid0(VALU_DEP_4) | instskip(SKIP_1) | instid1(VALU_DEP_4)
	v_fmac_f16_e32 v8, v27, v9
	v_mul_f16_e32 v9, v49, v56
	v_fma_f16 v56, v31, v56, -v58
	s_waitcnt vmcnt(9)
	v_lshrrev_b32_e32 v57, 16, v11
	v_mul_f16_e32 v58, v48, v11
	v_pack_b32_f16 v8, v8, v22
	v_fmac_f16_e32 v9, v31, v10
	s_delay_alu instid0(VALU_DEP_4)
	v_mul_f16_e32 v10, v48, v57
	s_waitcnt vmcnt(8)
	v_lshrrev_b32_e32 v22, 16, v5
	v_fma_f16 v57, v30, v57, -v58
	v_mul_f16_e32 v59, v29, v5
	v_pack_b32_f16 v9, v9, v56
	s_waitcnt vmcnt(7)
	v_lshrrev_b32_e32 v58, 16, v6
	v_mul_f16_e32 v56, v29, v22
	v_mul_f16_e32 v60, v25, v6
	v_fmac_f16_e32 v10, v30, v11
	v_fma_f16 v11, v33, v22, -v59
	v_mul_f16_e32 v61, v25, v58
	v_fmac_f16_e32 v56, v33, v5
	v_fma_f16 v5, v32, v58, -v60
	v_pack_b32_f16 v10, v10, v57
	s_delay_alu instid0(VALU_DEP_4)
	v_fmac_f16_e32 v61, v32, v6
	s_waitcnt vmcnt(6)
	v_lshrrev_b32_e32 v6, 16, v13
	v_mul_f16_e32 v22, v47, v13
	v_pack_b32_f16 v11, v56, v11
	v_pack_b32_f16 v5, v61, v5
	s_delay_alu instid0(VALU_DEP_4) | instskip(NEXT) | instid1(VALU_DEP_4)
	v_mul_f16_e32 v56, v47, v6
	v_fma_f16 v6, v46, v6, -v22
	ds_store_b32 v23, v7 offset:392
	ds_store_b32 v23, v8 offset:784
	ds_store_b32 v23, v9 offset:1176
	ds_store_b32 v23, v10 offset:1568
	ds_store_b32 v23, v11 offset:1960
	ds_store_b32 v23, v5 offset:2352
	s_waitcnt vmcnt(5)
	v_lshrrev_b32_e32 v57, 16, v14
	v_mul_f16_e32 v22, v45, v14
	v_fmac_f16_e32 v56, v46, v13
	s_delay_alu instid0(VALU_DEP_3) | instskip(NEXT) | instid1(VALU_DEP_3)
	v_mul_f16_e32 v5, v45, v57
	v_fma_f16 v8, v43, v57, -v22
	s_delay_alu instid0(VALU_DEP_3)
	v_pack_b32_f16 v6, v56, v6
	s_waitcnt vmcnt(4)
	v_lshrrev_b32_e32 v7, 16, v15
	v_mul_f16_e32 v9, v44, v15
	v_fmac_f16_e32 v5, v43, v14
	ds_store_2addr_b32 v23, v21, v6 offset1:49
	v_mul_f16_e32 v10, v44, v7
	s_waitcnt vmcnt(3)
	v_lshrrev_b32_e32 v11, 16, v16
	v_fma_f16 v7, v41, v7, -v9
	v_mul_f16_e32 v9, v42, v16
	v_pack_b32_f16 v5, v5, v8
	s_waitcnt vmcnt(2)
	v_lshrrev_b32_e32 v8, 16, v17
	v_mul_f16_e32 v6, v42, v11
	v_fmac_f16_e32 v10, v41, v15
	v_mul_f16_e32 v13, v40, v17
	v_fma_f16 v9, v39, v11, -v9
	v_mul_f16_e32 v14, v40, v8
	s_waitcnt vmcnt(1)
	v_lshrrev_b32_e32 v11, 16, v4
	s_waitcnt vmcnt(0)
	v_lshrrev_b32_e32 v15, 16, v1
	v_fmac_f16_e32 v6, v39, v16
	v_fma_f16 v8, v37, v8, -v13
	v_mul_f16_e32 v13, v38, v4
	v_mul_f16_e32 v16, v38, v11
	;; [unrolled: 1-line block ×4, first 2 shown]
	v_fmac_f16_e32 v14, v37, v17
	v_fma_f16 v11, v35, v11, -v13
	v_fmac_f16_e32 v16, v35, v4
	v_fma_f16 v4, v34, v15, -v21
	v_fmac_f16_e32 v22, v34, v1
	v_pack_b32_f16 v1, v10, v7
	v_pack_b32_f16 v6, v6, v9
	;; [unrolled: 1-line block ×5, first 2 shown]
	ds_store_b32 v23, v5 offset:588
	ds_store_b32 v23, v1 offset:980
	;; [unrolled: 1-line block ×6, first 2 shown]
	s_waitcnt lgkmcnt(0)
	s_barrier
	buffer_gl0_inv
	ds_load_2addr_b32 v[4:5], v23 offset0:98 offset1:147
	ds_load_2addr_b32 v[6:7], v23 offset0:196 offset1:245
	;; [unrolled: 1-line block ×6, first 2 shown]
	v_and_b32_e32 v17, 0xffff, v19
	v_and_b32_e32 v1, 0xff, v20
	v_mul_u32_u24_e32 v19, 6, v0
	s_delay_alu instid0(VALU_DEP_3)
	v_lshlrev_b32_e32 v77, 2, v17
	ds_load_2addr_b32 v[17:18], v23 offset1:49
	v_mul_u32_u24_e32 v20, 6, v1
	v_lshlrev_b32_e32 v19, 2, v19
	s_waitcnt lgkmcnt(0)
	s_barrier
	buffer_gl0_inv
	v_lshlrev_b32_e32 v20, 2, v20
	v_pk_add_f16 v21, v5, v11
	v_pk_add_f16 v22, v7, v14
	v_pk_add_f16 v57, v4, v10
	v_pk_add_f16 v58, v6, v13
	v_pk_add_f16 v59, v8, v15
	v_pk_add_f16 v4, v4, v10 neg_lo:[0,1] neg_hi:[0,1]
	v_pk_add_f16 v6, v6, v13 neg_lo:[0,1] neg_hi:[0,1]
	;; [unrolled: 1-line block ×3, first 2 shown]
	v_pk_add_f16 v56, v9, v16
	v_pk_add_f16 v5, v5, v11 neg_lo:[0,1] neg_hi:[0,1]
	v_pk_add_f16 v7, v7, v14 neg_lo:[0,1] neg_hi:[0,1]
	v_pk_add_f16 v9, v16, v9 neg_lo:[0,1] neg_hi:[0,1]
	v_pk_add_f16 v10, v22, v21
	v_pk_add_f16 v11, v58, v57
	v_pk_add_f16 v13, v58, v57 neg_lo:[0,1] neg_hi:[0,1]
	v_pk_add_f16 v14, v57, v59 neg_lo:[0,1] neg_hi:[0,1]
	v_pk_add_f16 v15, v8, v6
	v_pk_add_f16 v16, v4, v8 neg_lo:[0,1] neg_hi:[0,1]
	v_pk_add_f16 v57, v6, v4 neg_lo:[0,1] neg_hi:[0,1]
	;; [unrolled: 3-line block ×3, first 2 shown]
	v_pk_add_f16 v7, v9, v7 neg_lo:[0,1] neg_hi:[0,1]
	v_pk_add_f16 v9, v56, v10
	v_pk_add_f16 v10, v59, v11
	v_pk_add_f16 v6, v8, v6 neg_lo:[0,1] neg_hi:[0,1]
	v_pk_add_f16 v8, v22, v21 neg_lo:[0,1] neg_hi:[0,1]
	v_pk_add_f16 v21, v21, v56 neg_lo:[0,1] neg_hi:[0,1]
	v_pk_add_f16 v4, v15, v4
	v_pk_mul_f16 v11, 0x3a52, v14 op_sel_hi:[0,1]
	v_pk_mul_f16 v14, 0x3574, v16 op_sel_hi:[0,1]
	;; [unrolled: 1-line block ×3, first 2 shown]
	v_pk_add_f16 v58, v59, v58 neg_lo:[0,1] neg_hi:[0,1]
	v_pk_add_f16 v22, v56, v22 neg_lo:[0,1] neg_hi:[0,1]
	v_pk_mul_f16 v13, 0x39e0, v13 op_sel_hi:[0,1]
	v_pk_mul_f16 v56, 0x3574, v61 op_sel_hi:[0,1]
	;; [unrolled: 1-line block ×3, first 2 shown]
	v_pk_add_f16 v17, v17, v10
	v_pk_mul_f16 v21, 0x3a52, v21 op_sel_hi:[0,1]
	v_pk_mul_f16 v8, 0x39e0, v8 op_sel_hi:[0,1]
	v_pk_add_f16 v18, v18, v9
	v_pk_fma_f16 v16, 0x3574, v16, v15 op_sel_hi:[0,1,1] neg_lo:[0,1,1] neg_hi:[0,1,1]
	v_pk_fma_f16 v15, 0xb846, v6, v15 op_sel_hi:[0,1,1] neg_lo:[0,1,0] neg_hi:[0,1,0]
	v_pk_fma_f16 v6, 0xb846, v6, v14 op_sel_hi:[0,1,1]
	v_pk_add_f16 v5, v60, v5
	v_pk_add_f16 v59, v11, v13 op_sel:[1,1] op_sel_hi:[0,0] neg_lo:[1,1] neg_hi:[1,1]
	v_pk_fma_f16 v13, 0x2b26, v58, v13 op_sel_hi:[0,1,1] neg_lo:[0,1,0] neg_hi:[0,1,0]
	v_pk_fma_f16 v11, 0x2b26, v58, v11 op_sel_hi:[0,1,1]
	v_pk_fma_f16 v58, 0x3574, v61, v57 op_sel_hi:[0,1,1] neg_lo:[0,1,1] neg_hi:[0,1,1]
	v_pk_fma_f16 v57, 0xb846, v7, v57 op_sel_hi:[0,1,1] neg_lo:[0,1,0] neg_hi:[0,1,0]
	v_pk_fma_f16 v7, 0xb846, v7, v56 op_sel_hi:[0,1,1]
	v_pk_fma_f16 v10, 0x3cab, v10, v17 op_sel_hi:[0,1,1] neg_lo:[0,1,0] neg_hi:[0,1,0]
	v_pk_add_f16 v14, v21, v8 op_sel:[1,1] op_sel_hi:[0,0] neg_lo:[1,1] neg_hi:[1,1]
	v_pk_fma_f16 v8, 0x2b26, v22, v8 op_sel_hi:[0,1,1] neg_lo:[0,1,0] neg_hi:[0,1,0]
	v_pk_fma_f16 v21, 0x2b26, v22, v21 op_sel_hi:[0,1,1]
	v_pk_fma_f16 v16, 0x370e, v4, v16 op_sel_hi:[0,1,1]
	;; [unrolled: 1-line block ×4, first 2 shown]
	v_pk_fma_f16 v6, 0x3cab, v9, v18 op_sel_hi:[0,1,1] neg_lo:[0,1,0] neg_hi:[0,1,0]
	v_pk_fma_f16 v9, 0x370e, v5, v58 op_sel_hi:[0,1,1]
	v_pk_fma_f16 v22, 0x370e, v5, v57 op_sel_hi:[0,1,1]
	;; [unrolled: 1-line block ×3, first 2 shown]
	v_pk_add_f16 v7, v59, v10 op_sel:[0,1] op_sel_hi:[1,0]
	v_pk_add_f16 v13, v13, v10
	v_pk_add_f16 v10, v11, v10
	v_pk_add_f16 v11, v14, v6 op_sel:[0,1] op_sel_hi:[1,0]
	v_pk_add_f16 v8, v8, v6
	v_pk_add_f16 v6, v21, v6
	v_pk_add_f16 v14, v7, v16
	v_pk_add_f16 v7, v7, v16 neg_lo:[0,1] neg_hi:[0,1]
	v_pk_add_f16 v16, v13, v15 op_sel:[0,1] op_sel_hi:[1,0] neg_lo:[0,1] neg_hi:[0,1]
	v_pk_add_f16 v13, v13, v15 op_sel:[0,1] op_sel_hi:[1,0]
	v_pk_add_f16 v15, v10, v4 op_sel:[0,1] op_sel_hi:[1,0]
	v_pk_add_f16 v4, v10, v4 op_sel:[0,1] op_sel_hi:[1,0] neg_lo:[0,1] neg_hi:[0,1]
	v_pk_add_f16 v10, v11, v9
	v_pk_add_f16 v9, v11, v9 neg_lo:[0,1] neg_hi:[0,1]
	v_pk_add_f16 v11, v8, v22 op_sel:[0,1] op_sel_hi:[1,0] neg_lo:[0,1] neg_hi:[0,1]
	v_pk_add_f16 v8, v8, v22 op_sel:[0,1] op_sel_hi:[1,0]
	v_pk_add_f16 v21, v6, v5 op_sel:[0,1] op_sel_hi:[1,0]
	v_pk_add_f16 v5, v6, v5 op_sel:[0,1] op_sel_hi:[1,0] neg_lo:[0,1] neg_hi:[0,1]
	v_alignbit_b32 v6, v7, v14, 16
	v_alignbit_b32 v7, v14, v7, 16
	v_bfi_b32 v14, 0xffff, v4, v15
	v_bfi_b32 v4, 0xffff, v15, v4
	v_bfi_b32 v22, 0xffff, v16, v13
	v_bfi_b32 v13, 0xffff, v13, v16
	v_alignbit_b32 v15, v9, v10, 16
	v_bfi_b32 v16, 0xffff, v11, v8
	v_bfi_b32 v8, 0xffff, v8, v11
	v_alignbit_b32 v9, v10, v9, 16
	v_bfi_b32 v10, 0xffff, v5, v21
	v_bfi_b32 v5, 0xffff, v21, v5
	ds_store_2addr_b32 v77, v17, v4 offset1:1
	ds_store_2addr_b32 v77, v6, v22 offset0:2 offset1:3
	ds_store_2addr_b32 v77, v13, v7 offset0:4 offset1:5
	ds_store_b32 v77, v14 offset:24
	ds_store_2addr_b32 v76, v18, v5 offset1:1
	ds_store_2addr_b32 v76, v15, v16 offset0:2 offset1:3
	ds_store_2addr_b32 v76, v8, v9 offset0:4 offset1:5
	ds_store_b32 v76, v10 offset:24
	s_waitcnt lgkmcnt(0)
	s_barrier
	buffer_gl0_inv
	s_clause 0x3
	global_load_b128 v[8:11], v19, s[6:7]
	global_load_b128 v[4:7], v20, s[6:7]
	global_load_b64 v[15:16], v19, s[6:7] offset:16
	global_load_b64 v[17:18], v20, s[6:7] offset:16
	ds_load_2addr_b32 v[13:14], v23 offset0:98 offset1:147
	ds_load_2addr_b32 v[21:22], v23 offset0:196 offset1:245
	;; [unrolled: 1-line block ×4, first 2 shown]
	v_and_b32_e32 v19, 0xffff, v2
	v_and_b32_e32 v20, 0xffff, v3
	ds_load_2addr_b32 v[2:3], v54 offset0:106 offset1:155
	ds_load_2addr_b32 v[60:61], v55 offset0:76 offset1:125
	ds_load_2addr_b32 v[62:63], v23 offset1:49
	v_mul_u32_u24_e32 v64, 49, v19
	v_mul_u32_u24_e32 v65, 49, v20
	v_mad_u64_u32 v[19:20], null, v24, 24, s[6:7]
	s_waitcnt vmcnt(0) lgkmcnt(0)
	s_delay_alu instid0(VALU_DEP_3) | instskip(NEXT) | instid1(VALU_DEP_3)
	v_add_lshl_u32 v75, v64, v0, 2
	v_add_lshl_u32 v74, v65, v1, 2
	s_barrier
	buffer_gl0_inv
	v_lshrrev_b32_e32 v0, 16, v13
	v_lshrrev_b32_e32 v1, 16, v21
	;; [unrolled: 1-line block ×26, first 2 shown]
	v_mul_f16_e32 v92, v0, v89
	v_mul_f16_e32 v93, v13, v89
	v_mul_f16_e32 v94, v1, v88
	v_mul_f16_e32 v95, v21, v88
	v_mul_f16_e32 v96, v64, v87
	v_mul_f16_e32 v97, v66, v85
	v_mul_f16_e32 v98, v56, v87
	v_mul_f16_e32 v99, v65, v86
	v_mul_f16_e32 v100, v67, v84
	v_mul_f16_e32 v101, v14, v85
	v_mul_f16_e32 v102, v68, v83
	v_mul_f16_e32 v103, v22, v84
	v_mul_f16_e32 v104, v69, v82
	v_mul_f16_e32 v105, v57, v83
	v_mul_f16_e32 v106, v58, v86
	v_mul_f16_e32 v107, v59, v82
	v_mul_f16_e32 v108, v70, v81
	v_mul_f16_e32 v109, v71, v79
	v_mul_f16_e32 v110, v2, v81
	v_mul_f16_e32 v111, v3, v79
	v_mul_f16_e32 v112, v72, v80
	v_mul_f16_e32 v113, v73, v78
	v_mul_f16_e32 v114, v60, v80
	v_fma_f16 v13, v13, v8, -v92
	v_mul_f16_e32 v92, v61, v78
	v_fma_f16 v14, v14, v4, -v97
	v_fma_f16 v21, v21, v9, -v94
	;; [unrolled: 1-line block ×11, first 2 shown]
	v_fmac_f16_e32 v93, v0, v8
	v_fmac_f16_e32 v95, v1, v9
	;; [unrolled: 1-line block ×12, first 2 shown]
	v_add_f16_e32 v0, v13, v60
	v_sub_f16_e32 v1, v13, v60
	v_add_f16_e32 v13, v93, v114
	v_add_f16_e32 v64, v21, v2
	v_sub_f16_e32 v2, v21, v2
	v_add_f16_e32 v21, v95, v110
	;; [unrolled: 3-line block ×3, first 2 shown]
	v_add_f16_e32 v68, v14, v61
	v_sub_f16_e32 v14, v14, v61
	v_sub_f16_e32 v69, v101, v92
	v_add_f16_e32 v70, v22, v3
	v_sub_f16_e32 v3, v22, v3
	v_sub_f16_e32 v71, v103, v111
	;; [unrolled: 3-line block ×3, first 2 shown]
	v_sub_f16_e32 v60, v93, v114
	v_sub_f16_e32 v65, v95, v110
	v_sub_f16_e32 v67, v106, v98
	v_add_f16_e32 v61, v101, v92
	v_add_f16_e32 v22, v103, v111
	;; [unrolled: 1-line block ×4, first 2 shown]
	v_sub_f16_e32 v93, v64, v0
	v_sub_f16_e32 v0, v0, v66
	v_sub_f16_e32 v64, v66, v64
	v_add_f16_e32 v94, v21, v13
	v_sub_f16_e32 v95, v21, v13
	v_sub_f16_e32 v21, v58, v21
	v_add_f16_e32 v96, v56, v2
	v_sub_f16_e32 v97, v56, v2
	v_sub_f16_e32 v2, v2, v1
	;; [unrolled: 3-line block ×5, first 2 shown]
	v_add_f16_e32 v100, v70, v68
	v_add_f16_e32 v102, v22, v61
	v_sub_f16_e32 v13, v13, v58
	v_sub_f16_e32 v56, v1, v56
	;; [unrolled: 1-line block ×4, first 2 shown]
	v_add_f16_e32 v66, v66, v92
	v_add_f16_e32 v58, v58, v94
	;; [unrolled: 1-line block ×5, first 2 shown]
	v_mul_f16_e32 v0, 0x3a52, v0
	v_mul_f16_e32 v92, 0x2b26, v64
	;; [unrolled: 1-line block ×9, first 2 shown]
	v_sub_f16_e32 v67, v60, v67
	v_sub_f16_e32 v101, v70, v68
	;; [unrolled: 1-line block ×7, first 2 shown]
	v_add_f16_e32 v60, v98, v60
	v_add_f16_e32 v72, v72, v100
	v_add_f16_e32 v59, v59, v102
	v_mul_f16_e32 v98, 0xb846, v99
	v_mul_f16_e32 v99, 0xbb00, v65
	;; [unrolled: 1-line block ×3, first 2 shown]
	v_fmamk_f16 v64, v64, 0x2b26, v0
	v_fma_f16 v92, v93, 0x39e0, -v92
	v_fma_f16 v0, v93, 0xb9e0, -v0
	v_fma_f16 v93, v95, 0x39e0, -v94
	v_fma_f16 v2, v2, 0x3b00, -v96
	v_fmamk_f16 v94, v56, 0x3574, v96
	v_fmac_f16_e32 v97, 0xb574, v56
	v_add_f16_e32 v62, v62, v66
	v_fma_f16 v3, v3, 0x3b00, -v104
	v_fmamk_f16 v96, v57, 0x3574, v104
	v_fmac_f16_e32 v105, 0xb574, v57
	v_fma_f16 v57, v71, 0x3b00, -v106
	v_fmamk_f16 v71, v73, 0x3574, v106
	v_fmac_f16_e32 v107, 0xb574, v73
	v_add_f16_e32 v73, v90, v58
	v_mul_f16_e32 v68, 0x3a52, v68
	v_mul_f16_e32 v100, 0x2b26, v70
	;; [unrolled: 1-line block ×4, first 2 shown]
	v_fma_f16 v56, v65, 0x3b00, -v98
	v_fmamk_f16 v65, v67, 0x3574, v98
	v_fmac_f16_e32 v99, 0xb574, v67
	v_add_f16_e32 v63, v63, v72
	v_add_f16_e32 v90, v91, v59
	v_fmamk_f16 v21, v21, 0x2b26, v13
	v_fmac_f16_e32 v94, 0x370e, v1
	v_fmac_f16_e32 v2, 0x370e, v1
	;; [unrolled: 1-line block ×6, first 2 shown]
	v_fmamk_f16 v1, v66, 0xbcab, v62
	v_fmamk_f16 v14, v58, 0xbcab, v73
	v_fma_f16 v13, v95, 0xb9e0, -v13
	v_fmamk_f16 v67, v70, 0x2b26, v68
	v_fma_f16 v70, v101, 0x39e0, -v100
	;; [unrolled: 2-line block ×3, first 2 shown]
	v_fmac_f16_e32 v65, 0x370e, v60
	v_fmac_f16_e32 v56, 0x370e, v60
	;; [unrolled: 1-line block ×3, first 2 shown]
	v_fmamk_f16 v60, v72, 0xbcab, v63
	v_fmamk_f16 v59, v59, 0xbcab, v90
	v_fma_f16 v68, v101, 0xb9e0, -v68
	v_fma_f16 v61, v103, 0xb9e0, -v61
	v_pack_b32_f16 v58, v62, v73
	v_pack_b32_f16 v62, v63, v90
	v_add_f16_e32 v63, v64, v1
	v_add_f16_e32 v64, v92, v1
	;; [unrolled: 1-line block ×6, first 2 shown]
	v_fmac_f16_e32 v71, 0x370e, v69
	v_fmac_f16_e32 v57, 0x370e, v69
	v_add_f16_e32 v14, v67, v60
	v_add_f16_e32 v66, v70, v60
	v_add_f16_e32 v22, v22, v59
	v_add_f16_e32 v67, v95, v59
	v_fmac_f16_e32 v107, 0x370e, v69
	v_add_f16_e32 v60, v68, v60
	v_add_f16_e32 v59, v61, v59
	;; [unrolled: 1-line block ×3, first 2 shown]
	v_sub_f16_e32 v63, v63, v65
	v_sub_f16_e32 v65, v1, v94
	;; [unrolled: 1-line block ×3, first 2 shown]
	v_add_f16_e32 v56, v56, v64
	v_add_f16_e32 v64, v2, v21
	v_sub_f16_e32 v2, v21, v2
	v_add_f16_e32 v21, v99, v0
	v_sub_f16_e32 v68, v13, v97
	v_sub_f16_e32 v0, v0, v99
	v_add_f16_e32 v13, v97, v13
	v_add_f16_e32 v1, v94, v1
	v_sub_f16_e32 v70, v66, v57
	v_add_f16_e32 v57, v57, v66
	v_add_f16_e32 v66, v3, v67
	v_sub_f16_e32 v3, v67, v3
	v_add_f16_e32 v73, v71, v14
	v_sub_f16_e32 v14, v14, v71
	v_sub_f16_e32 v71, v22, v96
	v_add_f16_e32 v22, v96, v22
	v_add_f16_e32 v67, v107, v60
	v_sub_f16_e32 v60, v60, v107
	v_sub_f16_e32 v72, v59, v105
	v_add_f16_e32 v59, v105, v59
	v_pack_b32_f16 v65, v69, v65
	v_pack_b32_f16 v21, v21, v68
	;; [unrolled: 1-line block ×12, first 2 shown]
	ds_store_2addr_b32 v75, v58, v65 offset1:7
	ds_store_2addr_b32 v75, v21, v61 offset0:14 offset1:21
	ds_store_2addr_b32 v75, v2, v0 offset0:28 offset1:35
	ds_store_b32 v75, v1 offset:168
	ds_store_2addr_b32 v74, v62, v13 offset1:7
	ds_store_2addr_b32 v74, v56, v63 offset0:14 offset1:21
	ds_store_2addr_b32 v74, v3, v57 offset0:28 offset1:35
	ds_store_b32 v74, v14 offset:168
	s_waitcnt lgkmcnt(0)
	s_barrier
	buffer_gl0_inv
	s_clause 0x1
	global_load_b128 v[0:3], v[19:20], off offset:168
	global_load_b64 v[13:14], v[19:20], off offset:184
	ds_load_2addr_b32 v[21:22], v23 offset0:98 offset1:147
	ds_load_2addr_b32 v[56:57], v55 offset0:76 offset1:125
	;; [unrolled: 1-line block ×6, first 2 shown]
	ds_load_2addr_b32 v[66:67], v23 offset1:49
	v_mul_i32_i24_e32 v68, 0xffffffec, v24
	v_mul_hi_i32_i24_e32 v69, 0xffffffec, v24
	s_waitcnt vmcnt(0) lgkmcnt(0)
	s_barrier
	buffer_gl0_inv
	v_add_co_u32 v19, vcc_lo, v19, v68
	v_add_co_ci_u32_e32 v20, vcc_lo, v20, v69, vcc_lo
	v_lshrrev_b32_e32 v90, 16, v21
	v_lshrrev_b32_e32 v91, 16, v56
	;; [unrolled: 1-line block ×19, first 2 shown]
	v_mul_f16_e32 v109, v92, v72
	v_mul_f16_e32 v114, v98, v72
	v_lshrrev_b32_e32 v69, 16, v13
	v_mul_f16_e32 v106, v21, v71
	v_mul_f16_e32 v108, v58, v72
	;; [unrolled: 1-line block ×4, first 2 shown]
	v_fma_f16 v58, v58, v1, -v109
	v_fma_f16 v109, v59, v1, -v114
	v_mul_f16_e32 v114, v100, v70
	v_mul_f16_e32 v104, v90, v71
	;; [unrolled: 1-line block ×6, first 2 shown]
	v_fma_f16 v62, v62, v2, -v112
	v_mul_f16_e32 v112, v64, v70
	v_fma_f16 v64, v64, v3, -v113
	v_fma_f16 v113, v65, v3, -v114
	v_mul_f16_e32 v114, v60, v69
	v_fmac_f16_e32 v106, v90, v0
	v_mul_f16_e32 v90, v93, v69
	v_fma_f16 v21, v21, v0, -v104
	v_fma_f16 v104, v22, v0, -v111
	v_mul_f16_e32 v22, v22, v71
	v_mul_f16_e32 v111, v99, v73
	v_fmac_f16_e32 v107, v91, v14
	v_fmac_f16_e32 v108, v92, v1
	v_mul_f16_e32 v92, v57, v68
	v_fmac_f16_e32 v114, v93, v13
	v_mul_f16_e32 v93, v102, v69
	v_fma_f16 v56, v56, v14, -v105
	v_fma_f16 v60, v60, v13, -v90
	v_mul_f16_e32 v59, v59, v72
	v_fmac_f16_e32 v110, v94, v2
	v_mul_f16_e32 v94, v61, v69
	v_fma_f16 v111, v63, v2, -v111
	v_mul_f16_e32 v65, v65, v70
	v_mul_f16_e32 v91, v101, v68
	v_fmac_f16_e32 v112, v95, v3
	v_fma_f16 v61, v61, v13, -v93
	v_fmac_f16_e32 v22, v97, v0
	v_fmac_f16_e32 v92, v101, v14
	v_add_f16_e32 v90, v21, v56
	v_sub_f16_e32 v21, v21, v56
	v_add_f16_e32 v56, v106, v107
	v_add_f16_e32 v93, v58, v60
	v_sub_f16_e32 v58, v58, v60
	v_add_f16_e32 v60, v108, v114
	v_mul_f16_e32 v63, v63, v73
	v_fmac_f16_e32 v59, v98, v1
	v_fmac_f16_e32 v94, v102, v13
	v_fma_f16 v57, v57, v14, -v91
	v_fmac_f16_e32 v65, v100, v3
	v_add_f16_e32 v97, v62, v64
	v_sub_f16_e32 v62, v64, v62
	v_add_f16_e32 v64, v110, v112
	v_add_f16_e32 v100, v22, v92
	v_sub_f16_e32 v22, v22, v92
	v_add_f16_e32 v92, v109, v61
	v_sub_f16_e32 v61, v109, v61
	v_sub_f16_e32 v102, v113, v111
	v_add_f16_e32 v105, v60, v56
	v_fmac_f16_e32 v63, v99, v2
	v_sub_f16_e32 v95, v108, v114
	v_sub_f16_e32 v98, v112, v110
	v_add_f16_e32 v101, v59, v94
	v_sub_f16_e32 v91, v106, v107
	v_add_f16_e32 v99, v104, v57
	v_sub_f16_e32 v57, v104, v57
	v_sub_f16_e32 v59, v59, v94
	v_add_f16_e32 v94, v111, v113
	v_sub_f16_e32 v108, v56, v64
	;; [unrolled: 3-line block ×3, first 2 shown]
	v_sub_f16_e32 v58, v58, v21
	v_add_f16_e32 v64, v64, v105
	v_add_f16_e32 v105, v102, v61
	;; [unrolled: 1-line block ×3, first 2 shown]
	v_sub_f16_e32 v63, v65, v63
	v_add_f16_e32 v65, v93, v90
	v_sub_f16_e32 v106, v90, v97
	v_sub_f16_e32 v107, v97, v93
	v_add_f16_e32 v112, v98, v95
	v_add_f16_e32 v114, v101, v100
	v_sub_f16_e32 v62, v21, v62
	v_sub_f16_e32 v113, v98, v95
	;; [unrolled: 1-line block ×5, first 2 shown]
	v_add_f16_e32 v93, v92, v99
	v_sub_f16_e32 v95, v92, v99
	v_sub_f16_e32 v99, v99, v94
	;; [unrolled: 1-line block ×3, first 2 shown]
	v_add_f16_e32 v21, v110, v21
	v_sub_f16_e32 v110, v102, v61
	v_sub_f16_e32 v102, v57, v102
	;; [unrolled: 1-line block ×3, first 2 shown]
	v_mul_f16_e32 v111, 0xb846, v111
	v_add_f16_e32 v57, v105, v57
	v_mul_f16_e32 v105, 0xbb00, v58
	v_sub_f16_e32 v98, v91, v98
	v_add_f16_e32 v65, v97, v65
	v_sub_f16_e32 v97, v101, v100
	v_sub_f16_e32 v100, v100, v104
	;; [unrolled: 1-line block ×3, first 2 shown]
	v_add_f16_e32 v91, v112, v91
	v_add_f16_e32 v112, v63, v59
	v_mul_f16_e32 v106, 0x3a52, v106
	v_add_f16_e32 v104, v104, v114
	v_mul_f16_e32 v114, 0x2b26, v107
	v_add_f16_e32 v93, v94, v93
	v_sub_f16_e32 v94, v63, v59
	v_sub_f16_e32 v59, v59, v22
	v_mul_f16_e32 v99, 0x3a52, v99
	v_fma_f16 v58, v58, 0x3b00, -v111
	v_fmamk_f16 v111, v62, 0x3574, v111
	v_fmac_f16_e32 v105, 0xb574, v62
	v_mul_f16_e32 v62, 0x2b26, v92
	v_sub_f16_e32 v63, v22, v63
	v_mul_f16_e32 v108, 0x3a52, v108
	v_mul_f16_e32 v113, 0xb846, v113
	v_add_f16_e32 v22, v112, v22
	v_mul_f16_e32 v112, 0xbb00, v60
	v_fmamk_f16 v107, v107, 0x2b26, v106
	v_fma_f16 v114, v90, 0x39e0, -v114
	v_fma_f16 v90, v90, 0xb9e0, -v106
	v_mul_f16_e32 v106, 0x2b26, v109
	v_mul_f16_e32 v94, 0xb846, v94
	v_fmamk_f16 v92, v92, 0x2b26, v99
	v_fma_f16 v62, v95, 0x39e0, -v62
	v_fma_f16 v95, v95, 0xb9e0, -v99
	v_mul_f16_e32 v99, 0xbb00, v59
	v_mul_f16_e32 v100, 0x3a52, v100
	v_fma_f16 v60, v60, 0x3b00, -v113
	v_fmamk_f16 v113, v98, 0x3574, v113
	v_fmac_f16_e32 v112, 0xb574, v98
	v_mul_f16_e32 v98, 0x2b26, v101
	v_mul_f16_e32 v110, 0xb846, v110
	v_fmamk_f16 v109, v109, 0x2b26, v108
	v_fma_f16 v106, v56, 0x39e0, -v106
	v_fma_f16 v56, v56, 0xb9e0, -v108
	v_add_f16_e32 v66, v66, v65
	v_mul_f16_e32 v108, 0xbb00, v61
	v_add_f16_e32 v96, v96, v64
	v_add_f16_e32 v67, v67, v93
	v_fma_f16 v59, v59, 0x3b00, -v94
	v_fmamk_f16 v94, v63, 0x3574, v94
	v_fmac_f16_e32 v99, 0xb574, v63
	v_add_f16_e32 v63, v103, v104
	v_fmamk_f16 v101, v101, 0x2b26, v100
	v_fma_f16 v98, v97, 0x39e0, -v98
	v_fma_f16 v97, v97, 0xb9e0, -v100
	;; [unrolled: 1-line block ×3, first 2 shown]
	v_fmamk_f16 v100, v102, 0x3574, v110
	v_fmac_f16_e32 v108, 0xb574, v102
	v_fmamk_f16 v65, v65, 0xbcab, v66
	v_fmamk_f16 v64, v64, 0xbcab, v96
	v_fmac_f16_e32 v111, 0x370e, v21
	v_fmac_f16_e32 v58, 0x370e, v21
	;; [unrolled: 1-line block ×6, first 2 shown]
	v_fmamk_f16 v21, v93, 0xbcab, v67
	v_fmamk_f16 v22, v104, 0xbcab, v63
	v_fmac_f16_e32 v113, 0x370e, v91
	v_fmac_f16_e32 v100, 0x370e, v57
	v_fmac_f16_e32 v61, 0x370e, v57
	v_fmac_f16_e32 v108, 0x370e, v57
	v_pack_b32_f16 v57, v67, v63
	v_add_f16_e32 v63, v107, v65
	v_add_f16_e32 v67, v109, v64
	v_fmac_f16_e32 v60, 0x370e, v91
	v_fmac_f16_e32 v112, 0x370e, v91
	v_add_f16_e32 v91, v114, v65
	v_add_f16_e32 v65, v90, v65
	;; [unrolled: 1-line block ×10, first 2 shown]
	v_pack_b32_f16 v66, v66, v96
	v_add_f16_e32 v95, v113, v63
	v_sub_f16_e32 v96, v67, v111
	v_add_f16_e32 v97, v112, v65
	v_sub_f16_e32 v98, v56, v105
	v_sub_f16_e32 v101, v91, v60
	v_add_f16_e32 v102, v58, v64
	v_add_f16_e32 v60, v60, v91
	v_sub_f16_e32 v58, v64, v58
	v_sub_f16_e32 v64, v65, v112
	v_add_f16_e32 v56, v105, v56
	v_sub_f16_e32 v63, v63, v113
	v_add_f16_e32 v65, v111, v67
	;; [unrolled: 2-line block ×3, first 2 shown]
	v_add_f16_e32 v62, v61, v93
	v_sub_f16_e32 v61, v93, v61
	v_add_f16_e32 v91, v99, v21
	v_sub_f16_e32 v21, v21, v99
	v_sub_f16_e32 v93, v22, v108
	v_add_f16_e32 v22, v108, v22
	v_add_f16_e32 v99, v94, v90
	v_sub_f16_e32 v90, v90, v94
	v_sub_f16_e32 v94, v92, v100
	v_add_f16_e32 v92, v100, v92
	v_pack_b32_f16 v95, v95, v96
	v_pack_b32_f16 v96, v97, v98
	;; [unrolled: 1-line block ×12, first 2 shown]
	ds_store_2addr_b32 v23, v66, v95 offset1:49
	ds_store_2addr_b32 v23, v96, v97 offset0:98 offset1:147
	ds_store_2addr_b32 v23, v58, v56 offset0:196 offset1:245
	;; [unrolled: 1-line block ×6, first 2 shown]
	s_waitcnt lgkmcnt(0)
	s_barrier
	buffer_gl0_inv
	s_clause 0x6
	global_load_b32 v21, v[19:20], off offset:1344
	global_load_b32 v22, v[19:20], off offset:1540
	global_load_b32 v56, v[19:20], off offset:1736
	global_load_b32 v57, v[19:20], off offset:1932
	global_load_b32 v58, v[19:20], off offset:2128
	global_load_b32 v59, v[19:20], off offset:2324
	global_load_b32 v60, v[19:20], off offset:2520
	ds_load_2addr_b32 v[19:20], v53 offset0:38 offset1:87
	ds_load_2addr_b32 v[90:91], v53 offset0:136 offset1:185
	;; [unrolled: 1-line block ×4, first 2 shown]
	ds_load_2addr_b32 v[96:97], v23 offset1:49
	ds_load_2addr_b32 v[98:99], v23 offset0:98 offset1:147
	s_waitcnt lgkmcnt(5)
	v_lshrrev_b32_e32 v100, 16, v20
	s_waitcnt lgkmcnt(4)
	v_lshrrev_b32_e32 v101, 16, v90
	v_lshrrev_b32_e32 v102, 16, v91
	s_waitcnt lgkmcnt(3)
	v_lshrrev_b32_e32 v103, 16, v92
	s_waitcnt lgkmcnt(2)
	v_lshrrev_b32_e32 v105, 16, v94
	v_lshrrev_b32_e32 v106, 16, v95
	;; [unrolled: 1-line block ×3, first 2 shown]
	s_waitcnt vmcnt(6)
	v_lshrrev_b32_e32 v67, 16, v21
	s_waitcnt vmcnt(5)
	v_lshrrev_b32_e32 v66, 16, v22
	;; [unrolled: 2-line block ×7, first 2 shown]
	v_mul_f16_e32 v109, v101, v66
	v_mul_f16_e32 v110, v102, v65
	;; [unrolled: 1-line block ×5, first 2 shown]
	v_fma_f16 v109, v90, v22, -v109
	v_fma_f16 v110, v91, v56, -v110
	v_mul_f16_e32 v90, v105, v62
	v_mul_f16_e32 v91, v106, v61
	;; [unrolled: 1-line block ×4, first 2 shown]
	v_fma_f16 v92, v92, v57, -v113
	v_mul_f16_e32 v113, v94, v62
	v_fmac_f16_e32 v108, v101, v22
	v_mul_f16_e32 v101, v95, v61
	v_fma_f16 v94, v94, v59, -v90
	v_fma_f16 v95, v95, v60, -v91
	ds_load_2addr_b32 v[90:91], v23 offset0:196 offset1:245
	v_fmac_f16_e32 v107, v100, v21
	v_mul_f16_e32 v100, v100, v67
	v_fmac_f16_e32 v111, v102, v56
	s_waitcnt lgkmcnt(2)
	v_lshrrev_b32_e32 v102, 16, v96
	v_fmac_f16_e32 v112, v103, v57
	v_lshrrev_b32_e32 v103, 16, v97
	v_fma_f16 v20, v20, v21, -v100
	v_mul_f16_e32 v115, v93, v63
	v_mul_f16_e32 v114, v104, v63
	v_fmac_f16_e32 v101, v106, v60
	v_sub_f16_e32 v106, v102, v107
	v_sub_f16_e32 v20, v96, v20
	v_fmac_f16_e32 v113, v105, v59
	v_sub_f16_e32 v105, v97, v109
	v_sub_f16_e32 v107, v103, v108
	v_fmac_f16_e32 v115, v104, v58
	s_waitcnt lgkmcnt(1)
	v_lshrrev_b32_e32 v100, 16, v98
	v_lshrrev_b32_e32 v104, 16, v99
	v_fma_f16 v93, v93, v58, -v114
	v_fma_f16 v96, v96, 2.0, -v20
	s_waitcnt lgkmcnt(0)
	v_lshrrev_b32_e32 v108, 16, v90
	v_fma_f16 v102, v102, 2.0, -v106
	v_pack_b32_f16 v20, v20, v106
	v_lshrrev_b32_e32 v106, 16, v91
	v_fma_f16 v97, v97, 2.0, -v105
	v_fma_f16 v103, v103, 2.0, -v107
	v_pack_b32_f16 v105, v105, v107
	v_lshrrev_b32_e32 v107, 16, v19
	v_sub_f16_e32 v109, v98, v110
	v_sub_f16_e32 v110, v100, v111
	;; [unrolled: 1-line block ×10, first 2 shown]
	v_fma_f16 v100, v100, 2.0, -v110
	v_fma_f16 v98, v98, 2.0, -v109
	;; [unrolled: 1-line block ×4, first 2 shown]
	v_pack_b32_f16 v110, v109, v110
	v_pack_b32_f16 v109, v93, v112
	v_fma_f16 v108, v108, 2.0, -v112
	v_fma_f16 v90, v90, 2.0, -v93
	;; [unrolled: 1-line block ×5, first 2 shown]
	v_pack_b32_f16 v95, v95, v101
	v_fma_f16 v101, v107, 2.0, -v101
	v_pack_b32_f16 v96, v96, v102
	v_pack_b32_f16 v97, v97, v103
	ds_store_b32 v23, v20 offset:1372
	v_pack_b32_f16 v20, v98, v100
	v_pack_b32_f16 v98, v99, v104
	;; [unrolled: 1-line block ×7, first 2 shown]
	ds_store_2addr_b32 v23, v96, v97 offset1:49
	ds_store_2addr_b32 v53, v105, v110 offset0:136 offset1:185
	ds_store_2addr_b32 v23, v20, v98 offset0:98 offset1:147
	;; [unrolled: 1-line block ×5, first 2 shown]
	ds_store_b32 v23, v19 offset:1176
	s_waitcnt lgkmcnt(0)
	s_barrier
	buffer_gl0_inv
	s_clause 0xd
	global_load_b32 v90, v23, s[4:5] offset:2744
	global_load_b32 v94, v23, s[2:3] offset:196
	;; [unrolled: 1-line block ×14, first 2 shown]
	ds_load_2addr_b32 v[19:20], v23 offset1:49
	s_mul_i32 s2, s29, 0x188
	s_waitcnt lgkmcnt(0)
	v_lshrrev_b32_e32 v92, 16, v19
	s_waitcnt vmcnt(13)
	v_lshrrev_b32_e32 v91, 16, v90
	s_waitcnt vmcnt(12)
	v_lshrrev_b32_e32 v107, 16, v94
	s_waitcnt vmcnt(9)
	v_lshrrev_b32_e32 v109, 16, v97
	v_mul_f16_e32 v93, v19, v91
	v_mul_f16_e32 v91, v92, v91
	s_waitcnt vmcnt(8)
	v_lshrrev_b32_e32 v110, 16, v98
	s_waitcnt vmcnt(7)
	v_lshrrev_b32_e32 v111, 16, v99
	v_fmac_f16_e32 v93, v92, v90
	v_fma_f16 v19, v19, v90, -v91
	s_delay_alu instid0(VALU_DEP_1) | instskip(SKIP_4) | instid1(VALU_DEP_1)
	v_pack_b32_f16 v19, v19, v93
	ds_store_b32 v23, v19
	ds_load_2addr_b32 v[90:91], v23 offset0:196 offset1:245
	ds_load_2addr_b32 v[92:93], v23 offset0:98 offset1:147
	v_lshrrev_b32_e32 v19, 16, v20
	v_mul_f16_e32 v108, v19, v107
	v_mul_f16_e32 v107, v20, v107
	s_delay_alu instid0(VALU_DEP_2) | instskip(NEXT) | instid1(VALU_DEP_2)
	v_fma_f16 v108, v20, v94, -v108
	v_fmac_f16_e32 v107, v19, v94
	ds_load_2addr_b32 v[19:20], v53 offset0:38 offset1:87
	s_waitcnt lgkmcnt(2)
	v_lshrrev_b32_e32 v94, 16, v91
	v_mul_f16_e32 v112, v91, v109
	v_lshrrev_b32_e32 v113, 16, v90
	v_mul_f16_e32 v114, v90, v110
	s_delay_alu instid0(VALU_DEP_4) | instskip(NEXT) | instid1(VALU_DEP_4)
	v_mul_f16_e32 v109, v94, v109
	v_fmac_f16_e32 v112, v94, v97
	s_waitcnt lgkmcnt(1)
	v_lshrrev_b32_e32 v94, 16, v92
	v_mul_f16_e32 v110, v113, v110
	v_fmac_f16_e32 v114, v113, v98
	v_mul_f16_e32 v113, v92, v111
	v_fma_f16 v97, v91, v97, -v109
	v_mul_f16_e32 v111, v94, v111
	v_lshrrev_b32_e32 v109, 16, v93
	v_fma_f16 v98, v90, v98, -v110
	v_fmac_f16_e32 v113, v94, v99
	s_waitcnt vmcnt(6)
	v_lshrrev_b32_e32 v94, 16, v100
	ds_load_2addr_b32 v[90:91], v53 offset0:136 offset1:185
	v_fma_f16 v92, v92, v99, -v111
	s_waitcnt vmcnt(5)
	v_lshrrev_b32_e32 v99, 16, v101
	s_waitcnt lgkmcnt(1)
	v_lshrrev_b32_e32 v111, 16, v19
	v_mul_f16_e32 v110, v109, v94
	v_mul_f16_e32 v94, v93, v94
	v_pack_b32_f16 v97, v97, v112
	v_pack_b32_f16 v92, v92, v113
	;; [unrolled: 1-line block ×3, first 2 shown]
	v_fma_f16 v93, v93, v100, -v110
	v_lshrrev_b32_e32 v110, 16, v95
	v_fmac_f16_e32 v94, v109, v100
	v_mul_f16_e32 v100, v19, v99
	v_lshrrev_b32_e32 v109, 16, v20
	v_mul_f16_e32 v99, v111, v99
	s_delay_alu instid0(VALU_DEP_4) | instskip(NEXT) | instid1(VALU_DEP_4)
	v_pack_b32_f16 v93, v93, v94
	v_fmac_f16_e32 v100, v111, v101
	s_delay_alu instid0(VALU_DEP_4) | instskip(SKIP_3) | instid1(VALU_DEP_4)
	v_mul_f16_e32 v111, v109, v110
	v_mul_f16_e32 v110, v20, v110
	v_fma_f16 v99, v19, v101, -v99
	v_lshrrev_b32_e32 v19, 16, v96
	v_fma_f16 v101, v20, v95, -v111
	s_waitcnt lgkmcnt(0)
	v_lshrrev_b32_e32 v111, 16, v90
	s_waitcnt vmcnt(4)
	v_lshrrev_b32_e32 v20, 16, v102
	v_fmac_f16_e32 v110, v109, v95
	v_mul_f16_e32 v95, v90, v19
	v_lshrrev_b32_e32 v109, 16, v91
	v_mul_f16_e32 v19, v111, v19
	v_mul_f16_e32 v115, v91, v20
	v_pack_b32_f16 v99, v99, v100
	v_fmac_f16_e32 v95, v111, v96
	v_mul_f16_e32 v111, v109, v20
	v_fma_f16 v90, v90, v96, -v19
	ds_load_2addr_b32 v[19:20], v54 offset0:106 offset1:155
	s_waitcnt vmcnt(3)
	v_lshrrev_b32_e32 v96, 16, v103
	v_fmac_f16_e32 v115, v109, v102
	v_fma_f16 v91, v91, v102, -v111
	v_pack_b32_f16 v90, v90, v95
	v_pack_b32_f16 v94, v101, v110
	s_delay_alu instid0(VALU_DEP_3) | instskip(SKIP_4) | instid1(VALU_DEP_3)
	v_pack_b32_f16 v91, v91, v115
	s_waitcnt lgkmcnt(0)
	v_lshrrev_b32_e32 v102, 16, v19
	v_mul_f16_e32 v109, v19, v96
	v_lshrrev_b32_e32 v111, 16, v20
	v_mul_f16_e32 v96, v102, v96
	s_delay_alu instid0(VALU_DEP_3) | instskip(SKIP_2) | instid1(VALU_DEP_3)
	v_fmac_f16_e32 v109, v102, v103
	s_waitcnt vmcnt(2)
	v_lshrrev_b32_e32 v102, 16, v104
	v_fma_f16 v96, v19, v103, -v96
	s_waitcnt vmcnt(1)
	v_lshrrev_b32_e32 v103, 16, v105
	s_delay_alu instid0(VALU_DEP_3) | instskip(SKIP_2) | instid1(VALU_DEP_3)
	v_mul_f16_e32 v116, v20, v102
	v_mul_f16_e32 v102, v111, v102
	v_pack_b32_f16 v95, v96, v109
	v_fmac_f16_e32 v116, v111, v104
	s_delay_alu instid0(VALU_DEP_3)
	v_fma_f16 v102, v20, v104, -v102
	ds_load_2addr_b32 v[19:20], v55 offset0:76 offset1:125
	v_pack_b32_f16 v96, v102, v116
	s_waitcnt lgkmcnt(0)
	v_lshrrev_b32_e32 v104, 16, v19
	v_mul_f16_e32 v111, v19, v103
	s_delay_alu instid0(VALU_DEP_2) | instskip(NEXT) | instid1(VALU_DEP_2)
	v_mul_f16_e32 v103, v104, v103
	v_fmac_f16_e32 v111, v104, v105
	v_lshrrev_b32_e32 v104, 16, v20
	s_delay_alu instid0(VALU_DEP_3) | instskip(SKIP_2) | instid1(VALU_DEP_2)
	v_fma_f16 v19, v19, v105, -v103
	s_waitcnt vmcnt(0)
	v_lshrrev_b32_e32 v103, 16, v106
	v_pack_b32_f16 v19, v19, v111
	s_delay_alu instid0(VALU_DEP_2) | instskip(SKIP_1) | instid1(VALU_DEP_2)
	v_mul_f16_e32 v105, v104, v103
	v_mul_f16_e32 v103, v20, v103
	v_fma_f16 v20, v20, v106, -v105
	s_delay_alu instid0(VALU_DEP_2) | instskip(SKIP_2) | instid1(VALU_DEP_3)
	v_fmac_f16_e32 v103, v104, v106
	v_add_nc_u32_e32 v104, 0x200, v23
	v_pack_b32_f16 v105, v108, v107
	v_pack_b32_f16 v20, v20, v103
	ds_store_2addr_b32 v104, v97, v99 offset0:117 offset1:166
	ds_store_2addr_b32 v23, v105, v92 offset0:49 offset1:98
	;; [unrolled: 1-line block ×6, first 2 shown]
	ds_store_b32 v23, v20 offset:2548
	s_waitcnt lgkmcnt(0)
	s_barrier
	buffer_gl0_inv
	ds_load_2addr_b32 v[19:20], v23 offset0:98 offset1:147
	ds_load_2addr_b32 v[90:91], v55 offset0:76 offset1:125
	ds_load_2addr_b32 v[92:93], v23 offset0:196 offset1:245
	ds_load_2addr_b32 v[94:95], v54 offset0:106 offset1:155
	ds_load_2addr_b32 v[96:97], v53 offset0:38 offset1:87
	ds_load_2addr_b32 v[98:99], v53 offset0:136 offset1:185
	ds_load_2addr_b32 v[100:101], v23 offset1:49
	s_waitcnt lgkmcnt(0)
	s_barrier
	buffer_gl0_inv
	v_pk_add_f16 v102, v20, v91
	v_pk_add_f16 v103, v19, v90
	v_pk_add_f16 v20, v20, v91 neg_lo:[0,1] neg_hi:[0,1]
	v_pk_add_f16 v91, v92, v94
	v_pk_add_f16 v19, v19, v90 neg_lo:[0,1] neg_hi:[0,1]
	;; [unrolled: 2-line block ×4, first 2 shown]
	v_pk_add_f16 v93, v93, v95 neg_lo:[0,1] neg_hi:[0,1]
	v_pk_add_f16 v95, v97, v99
	v_pk_add_f16 v97, v99, v97 neg_lo:[0,1] neg_hi:[0,1]
	v_pk_add_f16 v98, v91, v103
	v_pk_add_f16 v99, v103, v94 neg_lo:[0,1] neg_hi:[0,1]
	v_pk_add_f16 v104, v94, v91 neg_lo:[0,1] neg_hi:[0,1]
	v_pk_add_f16 v105, v96, v92
	v_pk_add_f16 v106, v19, v96 neg_lo:[0,1] neg_hi:[0,1]
	v_pk_add_f16 v96, v96, v92 neg_lo:[0,1] neg_hi:[0,1]
	;; [unrolled: 1-line block ×4, first 2 shown]
	v_pk_add_f16 v103, v90, v102
	v_pk_add_f16 v109, v97, v93
	v_pk_add_f16 v110, v20, v97 neg_lo:[0,1] neg_hi:[0,1]
	v_pk_add_f16 v97, v97, v93 neg_lo:[0,1] neg_hi:[0,1]
	v_pk_add_f16 v93, v93, v20 neg_lo:[0,1] neg_hi:[0,1]
	v_pk_add_f16 v94, v94, v98
	v_pk_add_f16 v107, v102, v95 neg_lo:[0,1] neg_hi:[0,1]
	v_pk_add_f16 v108, v95, v90 neg_lo:[0,1] neg_hi:[0,1]
	;; [unrolled: 1-line block ×3, first 2 shown]
	v_pk_mul_f16 v98, 0x3a52, v99 op_sel_hi:[0,1]
	v_pk_mul_f16 v99, 0xb574, v106 op_sel_hi:[0,1]
	;; [unrolled: 1-line block ×4, first 2 shown]
	v_pk_add_f16 v95, v95, v103
	v_pk_mul_f16 v102, 0xb574, v110 op_sel_hi:[0,1]
	v_pk_mul_f16 v93, 0xbb00, v93 op_sel_hi:[0,1]
	v_pk_add_f16 v100, v100, v94
	v_pk_add_f16 v19, v105, v19
	v_pk_mul_f16 v103, 0x3a52, v107 op_sel_hi:[0,1]
	v_pk_mul_f16 v90, 0x39e0, v90 op_sel_hi:[0,1]
	v_pk_fma_f16 v99, 0x3846, v96, v99 op_sel_hi:[0,1,1]
	v_pk_fma_f16 v105, 0x2b26, v104, v98 op_sel_hi:[0,1,1]
	v_pk_fma_f16 v106, 0xb574, v106, v92 op_sel_hi:[0,1,1] neg_lo:[0,1,1] neg_hi:[0,1,1]
	v_pk_fma_f16 v92, 0x3846, v96, v92 op_sel_hi:[0,1,1] neg_lo:[0,1,0] neg_hi:[0,1,0]
	;; [unrolled: 1-line block ×3, first 2 shown]
	v_pk_add_f16 v91, v98, v91 op_sel:[1,1] op_sel_hi:[0,0] neg_lo:[1,1] neg_hi:[1,1]
	v_pk_add_f16 v98, v101, v95
	v_pk_add_f16 v20, v109, v20
	v_pk_fma_f16 v101, 0x3846, v97, v102 op_sel_hi:[0,1,1]
	v_pk_fma_f16 v104, 0xb574, v110, v93 op_sel_hi:[0,1,1] neg_lo:[0,1,1] neg_hi:[0,1,1]
	v_pk_fma_f16 v93, 0x3846, v97, v93 op_sel_hi:[0,1,1] neg_lo:[0,1,0] neg_hi:[0,1,0]
	;; [unrolled: 1-line block ×3, first 2 shown]
	v_pk_fma_f16 v102, 0x2b26, v108, v103 op_sel_hi:[0,1,1]
	v_pk_fma_f16 v97, 0x2b26, v108, v90 op_sel_hi:[0,1,1] neg_lo:[0,1,0] neg_hi:[0,1,0]
	v_pk_add_f16 v90, v103, v90 op_sel:[1,1] op_sel_hi:[0,0] neg_lo:[1,1] neg_hi:[1,1]
	v_pk_fma_f16 v99, 0xb70e, v19, v99 op_sel_hi:[0,1,1]
	v_pk_fma_f16 v103, 0xb70e, v19, v106 op_sel_hi:[0,1,1]
	;; [unrolled: 1-line block ×3, first 2 shown]
	v_pk_fma_f16 v92, 0x3cab, v95, v98 op_sel_hi:[0,1,1] neg_lo:[0,1,0] neg_hi:[0,1,0]
	v_pk_fma_f16 v95, 0xb70e, v20, v101 op_sel_hi:[0,1,1]
	v_pk_fma_f16 v101, 0xb70e, v20, v104 op_sel_hi:[0,1,1]
	;; [unrolled: 1-line block ×3, first 2 shown]
	v_pk_add_f16 v93, v105, v94
	v_pk_add_f16 v96, v96, v94
	v_pk_add_f16 v91, v91, v94 op_sel:[0,1] op_sel_hi:[1,0]
	v_pk_add_f16 v94, v102, v92
	v_pk_add_f16 v97, v97, v92
	v_pk_add_f16 v90, v90, v92 op_sel:[0,1] op_sel_hi:[1,0]
	v_pk_add_f16 v92, v93, v99 op_sel:[0,1] op_sel_hi:[1,0]
	v_pk_add_f16 v93, v93, v99 op_sel:[0,1] op_sel_hi:[1,0] neg_lo:[0,1] neg_hi:[0,1]
	v_pk_add_f16 v99, v96, v19 op_sel:[0,1] op_sel_hi:[1,0] neg_lo:[0,1] neg_hi:[0,1]
	v_pk_add_f16 v19, v96, v19 op_sel:[0,1] op_sel_hi:[1,0]
	v_pk_add_f16 v96, v91, v103
	v_pk_add_f16 v91, v91, v103 neg_lo:[0,1] neg_hi:[0,1]
	v_pk_add_f16 v102, v94, v95 op_sel:[0,1] op_sel_hi:[1,0]
	v_pk_add_f16 v94, v94, v95 op_sel:[0,1] op_sel_hi:[1,0] neg_lo:[0,1] neg_hi:[0,1]
	v_pk_add_f16 v95, v97, v20 op_sel:[0,1] op_sel_hi:[1,0] neg_lo:[0,1] neg_hi:[0,1]
	v_pk_add_f16 v20, v97, v20 op_sel:[0,1] op_sel_hi:[1,0]
	v_pk_add_f16 v97, v90, v101
	v_pk_add_f16 v90, v90, v101 neg_lo:[0,1] neg_hi:[0,1]
	v_bfi_b32 v101, 0xffff, v92, v93
	v_bfi_b32 v103, 0xffff, v99, v19
	v_alignbit_b32 v104, v91, v96, 16
	v_bfi_b32 v19, 0xffff, v19, v99
	v_alignbit_b32 v91, v96, v91, 16
	v_bfi_b32 v92, 0xffff, v93, v92
	v_bfi_b32 v93, 0xffff, v102, v94
	;; [unrolled: 1-line block ×3, first 2 shown]
	v_alignbit_b32 v99, v90, v97, 16
	v_bfi_b32 v20, 0xffff, v20, v95
	v_alignbit_b32 v90, v97, v90, 16
	v_bfi_b32 v94, 0xffff, v94, v102
	ds_store_2addr_b32 v77, v100, v101 offset1:1
	ds_store_2addr_b32 v77, v104, v103 offset0:2 offset1:3
	ds_store_2addr_b32 v77, v19, v91 offset0:4 offset1:5
	ds_store_b32 v77, v92 offset:24
	ds_store_2addr_b32 v76, v98, v93 offset1:1
	ds_store_2addr_b32 v76, v99, v96 offset0:2 offset1:3
	ds_store_2addr_b32 v76, v20, v90 offset0:4 offset1:5
	ds_store_b32 v76, v94 offset:24
	s_waitcnt lgkmcnt(0)
	s_barrier
	buffer_gl0_inv
	ds_load_2addr_b32 v[19:20], v23 offset0:98 offset1:147
	ds_load_2addr_b32 v[76:77], v23 offset0:196 offset1:245
	;; [unrolled: 1-line block ×6, first 2 shown]
	ds_load_2addr_b32 v[98:99], v23 offset1:49
	s_waitcnt lgkmcnt(0)
	s_barrier
	buffer_gl0_inv
	v_lshrrev_b32_e32 v100, 16, v19
	v_mul_f16_e32 v101, v89, v19
	v_lshrrev_b32_e32 v102, 16, v76
	v_mul_f16_e32 v103, v88, v76
	v_lshrrev_b32_e32 v104, 16, v90
	v_mul_f16_e32 v105, v87, v90
	v_lshrrev_b32_e32 v106, 16, v92
	v_mul_f16_e32 v107, v86, v92
	v_lshrrev_b32_e32 v108, 16, v20
	v_mul_f16_e32 v109, v85, v20
	v_lshrrev_b32_e32 v110, 16, v77
	v_mul_f16_e32 v111, v84, v77
	v_lshrrev_b32_e32 v112, 16, v91
	v_mul_f16_e32 v113, v83, v91
	v_lshrrev_b32_e32 v114, 16, v93
	v_mul_f16_e32 v89, v89, v100
	v_fma_f16 v100, v8, v100, -v101
	v_mul_f16_e32 v101, v82, v93
	v_mul_f16_e32 v88, v88, v102
	v_fma_f16 v102, v9, v102, -v103
	v_lshrrev_b32_e32 v103, 16, v94
	v_mul_f16_e32 v87, v87, v104
	v_fma_f16 v104, v10, v104, -v105
	v_mul_f16_e32 v105, v81, v94
	v_mul_f16_e32 v86, v86, v106
	v_fma_f16 v106, v11, v106, -v107
	v_lshrrev_b32_e32 v107, 16, v96
	v_mul_f16_e32 v85, v85, v108
	;; [unrolled: 6-line block ×4, first 2 shown]
	v_fma_f16 v103, v15, v103, -v105
	v_mul_f16_e32 v105, v78, v97
	v_mul_f16_e32 v80, v80, v107
	v_fma_f16 v107, v16, v107, -v109
	v_mul_f16_e32 v79, v79, v111
	v_fma_f16 v111, v17, v111, -v113
	;; [unrolled: 2-line block ×3, first 2 shown]
	v_fmac_f16_e32 v89, v8, v19
	v_fmac_f16_e32 v88, v9, v76
	;; [unrolled: 1-line block ×12, first 2 shown]
	v_add_f16_e32 v4, v100, v107
	v_sub_f16_e32 v5, v100, v107
	v_add_f16_e32 v6, v102, v103
	v_sub_f16_e32 v7, v102, v103
	;; [unrolled: 2-line block ×5, first 2 shown]
	v_sub_f16_e32 v18, v101, v112
	v_add_f16_e32 v17, v112, v101
	v_add_f16_e32 v19, v89, v80
	v_sub_f16_e32 v20, v89, v80
	v_add_f16_e32 v76, v88, v81
	v_sub_f16_e32 v77, v88, v81
	;; [unrolled: 2-line block ×7, first 2 shown]
	v_sub_f16_e32 v4, v4, v8
	v_sub_f16_e32 v6, v8, v6
	v_add_f16_e32 v88, v9, v7
	v_sub_f16_e32 v89, v9, v7
	v_sub_f16_e32 v7, v7, v5
	v_add_f16_e32 v90, v15, v10
	v_add_f16_e32 v92, v18, v16
	v_sub_f16_e32 v93, v18, v16
	v_sub_f16_e32 v16, v16, v11
	;; [unrolled: 1-line block ×5, first 2 shown]
	v_lshrrev_b32_e32 v109, 16, v98
	v_lshrrev_b32_e32 v113, 16, v99
	v_sub_f16_e32 v9, v5, v9
	v_sub_f16_e32 v18, v11, v18
	v_add_f16_e32 v8, v8, v83
	v_add_f16_e32 v17, v17, v90
	;; [unrolled: 1-line block ×3, first 2 shown]
	v_mul_f16_e32 v4, 0x3a52, v4
	v_mul_f16_e32 v94, 0x2b26, v6
	;; [unrolled: 1-line block ×4, first 2 shown]
	v_add_f16_e32 v96, v85, v86
	v_add_f16_e32 v100, v82, v79
	v_mul_f16_e32 v93, 0x3846, v93
	v_mul_f16_e32 v103, 0x3b00, v16
	v_add_f16_e32 v5, v88, v5
	v_add_f16_e32 v11, v92, v11
	v_sub_f16_e32 v88, v76, v19
	v_sub_f16_e32 v19, v19, v80
	;; [unrolled: 1-line block ×3, first 2 shown]
	v_add_f16_e32 v90, v81, v77
	v_sub_f16_e32 v92, v81, v77
	v_sub_f16_e32 v77, v77, v20
	v_mul_f16_e32 v10, 0x3a52, v10
	v_mul_f16_e32 v102, 0x2b26, v15
	v_sub_f16_e32 v101, v82, v79
	v_sub_f16_e32 v82, v78, v82
	;; [unrolled: 1-line block ×3, first 2 shown]
	v_add_f16_e32 v80, v80, v83
	v_fmamk_f16 v6, v6, 0x2b26, v4
	v_fma_f16 v83, v87, 0x39e0, -v94
	v_fma_f16 v4, v87, 0xb9e0, -v4
	v_fma_f16 v7, v7, 0xbb00, -v89
	v_fmamk_f16 v87, v9, 0xb574, v89
	v_fmac_f16_e32 v95, 0x3574, v9
	v_add_f16_e32 v9, v84, v96
	v_add_f16_e32 v78, v100, v78
	v_fma_f16 v16, v16, 0xbb00, -v93
	v_fmamk_f16 v89, v18, 0xb574, v93
	v_fmac_f16_e32 v103, 0x3574, v18
	v_add_f16_e32 v96, v109, v8
	v_add_f16_e32 v100, v113, v17
	v_sub_f16_e32 v81, v20, v81
	v_sub_f16_e32 v97, v85, v86
	v_sub_f16_e32 v86, v86, v84
	v_sub_f16_e32 v85, v84, v85
	v_add_f16_e32 v20, v90, v20
	v_fmamk_f16 v15, v15, 0x2b26, v10
	v_fma_f16 v84, v91, 0x39e0, -v102
	v_fma_f16 v10, v91, 0xb9e0, -v10
	v_mul_f16_e32 v18, 0x3a52, v19
	v_mul_f16_e32 v19, 0x2b26, v76
	;; [unrolled: 1-line block ×4, first 2 shown]
	v_fmac_f16_e32 v87, 0xb70e, v5
	v_fmac_f16_e32 v7, 0xb70e, v5
	;; [unrolled: 1-line block ×3, first 2 shown]
	v_add_f16_e32 v5, v98, v80
	v_fmamk_f16 v8, v8, 0xbcab, v96
	v_fmac_f16_e32 v89, 0xb70e, v11
	v_fmac_f16_e32 v16, 0xb70e, v11
	;; [unrolled: 1-line block ×3, first 2 shown]
	v_fmamk_f16 v11, v17, 0xbcab, v100
	v_mul_f16_e32 v86, 0x3a52, v86
	v_mul_f16_e32 v92, 0x2b26, v85
	;; [unrolled: 1-line block ×4, first 2 shown]
	v_fmamk_f16 v76, v76, 0x2b26, v18
	v_fma_f16 v19, v88, 0x39e0, -v19
	v_fma_f16 v18, v88, 0xb9e0, -v18
	v_fmamk_f16 v88, v81, 0xb574, v90
	v_fmac_f16_e32 v91, 0x3574, v81
	v_add_f16_e32 v81, v99, v9
	v_add_f16_e32 v6, v6, v8
	;; [unrolled: 1-line block ×7, first 2 shown]
	v_fmamk_f16 v11, v80, 0xbcab, v5
	v_fma_f16 v77, v77, 0xbb00, -v90
	v_fmamk_f16 v85, v85, 0x2b26, v86
	v_fma_f16 v90, v97, 0x39e0, -v92
	v_fma_f16 v86, v97, 0xb9e0, -v86
	;; [unrolled: 1-line block ×3, first 2 shown]
	v_fmamk_f16 v92, v82, 0xb574, v93
	v_fmac_f16_e32 v94, 0x3574, v82
	v_fmamk_f16 v9, v9, 0xbcab, v81
	v_fmac_f16_e32 v88, 0xb70e, v20
	v_add_f16_e32 v76, v76, v11
	v_fmac_f16_e32 v77, 0xb70e, v20
	v_fmac_f16_e32 v91, 0xb70e, v20
	v_add_f16_e32 v19, v19, v11
	v_add_f16_e32 v11, v18, v11
	v_fmac_f16_e32 v92, 0xb70e, v78
	v_fmac_f16_e32 v79, 0xb70e, v78
	;; [unrolled: 1-line block ×3, first 2 shown]
	v_pack_b32_f16 v20, v81, v100
	v_add_f16_e32 v80, v85, v9
	v_add_f16_e32 v81, v90, v9
	;; [unrolled: 1-line block ×3, first 2 shown]
	v_sub_f16_e32 v78, v6, v88
	v_add_f16_e32 v85, v87, v76
	v_add_f16_e32 v18, v77, v17
	v_sub_f16_e32 v17, v17, v77
	v_sub_f16_e32 v77, v4, v91
	;; [unrolled: 1-line block ×3, first 2 shown]
	v_add_f16_e32 v7, v7, v19
	v_add_f16_e32 v19, v95, v11
	v_add_f16_e32 v4, v91, v4
	v_sub_f16_e32 v11, v11, v95
	v_add_f16_e32 v6, v88, v6
	v_sub_f16_e32 v76, v76, v87
	v_add_f16_e32 v82, v79, v15
	v_sub_f16_e32 v15, v15, v79
	v_sub_f16_e32 v79, v10, v94
	v_add_f16_e32 v10, v94, v10
	v_sub_f16_e32 v83, v8, v92
	v_add_f16_e32 v8, v92, v8
	;; [unrolled: 2-line block ×3, first 2 shown]
	v_add_f16_e32 v81, v103, v9
	v_sub_f16_e32 v9, v9, v103
	v_add_f16_e32 v87, v89, v80
	v_sub_f16_e32 v80, v80, v89
	v_pack_b32_f16 v5, v5, v96
	v_pack_b32_f16 v78, v85, v78
	;; [unrolled: 1-line block ×13, first 2 shown]
	ds_store_2addr_b32 v75, v5, v78 offset1:7
	ds_store_2addr_b32 v75, v19, v18 offset0:14 offset1:21
	ds_store_2addr_b32 v75, v7, v4 offset0:28 offset1:35
	ds_store_b32 v75, v6 offset:168
	ds_store_2addr_b32 v74, v20, v11 offset1:7
	ds_store_2addr_b32 v74, v17, v76 offset0:14 offset1:21
	ds_store_2addr_b32 v74, v15, v9 offset0:28 offset1:35
	ds_store_b32 v74, v8 offset:168
	s_waitcnt lgkmcnt(0)
	s_barrier
	buffer_gl0_inv
	ds_load_2addr_b32 v[4:5], v23 offset0:98 offset1:147
	ds_load_2addr_b32 v[6:7], v23 offset0:196 offset1:245
	;; [unrolled: 1-line block ×6, first 2 shown]
	ds_load_2addr_b32 v[76:77], v23 offset1:49
	v_mad_u64_u32 v[16:17], null, s30, v12, 0
	s_waitcnt lgkmcnt(0)
	s_barrier
	buffer_gl0_inv
	s_mul_hi_u32 s30, s28, 0x188
	s_delay_alu instid0(SALU_CYCLE_1)
	s_add_i32 s30, s30, s2
	v_lshrrev_b32_e32 v15, 16, v4
	v_lshrrev_b32_e32 v20, 16, v6
	;; [unrolled: 1-line block ×7, first 2 shown]
	v_mul_f16_e32 v83, v71, v4
	v_mul_f16_e32 v84, v71, v5
	v_lshrrev_b32_e32 v85, 16, v11
	v_mul_f16_e32 v86, v72, v6
	v_mul_f16_e32 v87, v72, v7
	;; [unrolled: 1-line block ×6, first 2 shown]
	v_lshrrev_b32_e32 v92, 16, v18
	v_lshrrev_b32_e32 v93, 16, v74
	;; [unrolled: 1-line block ×3, first 2 shown]
	v_mul_f16_e32 v96, v69, v18
	v_mul_f16_e32 v97, v68, v74
	;; [unrolled: 1-line block ×3, first 2 shown]
	v_lshrrev_b32_e32 v95, 16, v75
	v_mul_f16_e32 v99, v68, v75
	v_mul_f16_e32 v102, v71, v15
	;; [unrolled: 1-line block ×7, first 2 shown]
	v_fma_f16 v15, v0, v15, -v83
	v_mul_f16_e32 v83, v70, v79
	v_mul_f16_e32 v70, v70, v85
	v_fma_f16 v20, v1, v20, -v86
	v_fma_f16 v80, v0, v80, -v84
	;; [unrolled: 1-line block ×8, first 2 shown]
	v_mul_f16_e32 v86, v69, v92
	v_fma_f16 v87, v13, v94, -v98
	v_mul_f16_e32 v88, v68, v93
	v_fma_f16 v89, v14, v93, -v97
	v_mul_f16_e32 v69, v69, v94
	v_mul_f16_e32 v68, v68, v95
	v_fma_f16 v90, v14, v95, -v99
	v_fmac_f16_e32 v102, v0, v4
	v_fmac_f16_e32 v71, v0, v5
	;; [unrolled: 1-line block ×10, first 2 shown]
	v_add_f16_e32 v0, v15, v89
	v_sub_f16_e32 v1, v15, v89
	v_add_f16_e32 v2, v20, v85
	v_sub_f16_e32 v3, v20, v85
	v_sub_f16_e32 v5, v79, v78
	;; [unrolled: 1-line block ×4, first 2 shown]
	v_fmac_f16_e32 v69, v13, v19
	v_fmac_f16_e32 v68, v14, v75
	v_sub_f16_e32 v7, v80, v90
	v_add_f16_e32 v4, v78, v79
	v_add_f16_e32 v6, v80, v90
	;; [unrolled: 1-line block ×6, first 2 shown]
	v_sub_f16_e32 v18, v103, v86
	v_sub_f16_e32 v20, v83, v104
	v_add_f16_e32 v74, v2, v0
	v_add_f16_e32 v78, v5, v3
	v_sub_f16_e32 v79, v5, v3
	v_sub_f16_e32 v3, v3, v1
	v_add_f16_e32 v82, v11, v9
	v_sub_f16_e32 v14, v102, v88
	v_add_f16_e32 v19, v104, v83
	v_add_f16_e32 v80, v71, v68
	v_sub_f16_e32 v68, v71, v68
	v_add_f16_e32 v71, v72, v69
	v_sub_f16_e32 v83, v11, v9
	v_sub_f16_e32 v9, v9, v7
	;; [unrolled: 1-line block ×7, first 2 shown]
	v_add_f16_e32 v72, v73, v70
	v_sub_f16_e32 v70, v70, v73
	v_add_f16_e32 v73, v8, v6
	v_sub_f16_e32 v11, v7, v11
	v_add_f16_e32 v84, v15, v13
	v_add_f16_e32 v4, v4, v74
	;; [unrolled: 1-line block ×3, first 2 shown]
	v_mul_f16_e32 v79, 0x3846, v79
	v_add_f16_e32 v7, v82, v7
	v_mul_f16_e32 v82, 0x3b00, v3
	v_lshrrev_b32_e32 v100, 16, v76
	v_sub_f16_e32 v81, v8, v6
	v_sub_f16_e32 v6, v6, v10
	;; [unrolled: 1-line block ×3, first 2 shown]
	v_add_f16_e32 v1, v78, v1
	v_sub_f16_e32 v78, v20, v18
	v_sub_f16_e32 v18, v18, v14
	v_add_f16_e32 v86, v71, v80
	v_mul_f16_e32 v83, 0x3846, v83
	v_mul_f16_e32 v91, 0x3b00, v9
	v_lshrrev_b32_e32 v101, 16, v77
	v_sub_f16_e32 v85, v15, v13
	v_sub_f16_e32 v13, v13, v19
	;; [unrolled: 1-line block ×4, first 2 shown]
	v_add_f16_e32 v10, v10, v73
	v_sub_f16_e32 v89, v70, v69
	v_add_f16_e32 v19, v19, v84
	v_add_f16_e32 v14, v74, v14
	v_fma_f16 v3, v3, 0xbb00, -v79
	v_fmamk_f16 v74, v5, 0xb574, v79
	v_fmac_f16_e32 v82, 0x3574, v5
	v_mul_f16_e32 v0, 0x3a52, v0
	v_mul_f16_e32 v73, 0x2b26, v2
	v_sub_f16_e32 v87, v71, v80
	v_sub_f16_e32 v80, v80, v72
	;; [unrolled: 1-line block ×3, first 2 shown]
	v_add_f16_e32 v88, v70, v69
	v_sub_f16_e32 v69, v69, v68
	v_mul_f16_e32 v6, 0x3a52, v6
	v_mul_f16_e32 v90, 0x2b26, v8
	v_add_f16_e32 v5, v72, v86
	v_mul_f16_e32 v78, 0x3846, v78
	v_fma_f16 v9, v9, 0xbb00, -v83
	v_fmamk_f16 v79, v11, 0xb574, v83
	v_fmac_f16_e32 v91, 0x3574, v11
	v_mul_f16_e32 v11, 0x3b00, v18
	v_add_f16_e32 v83, v100, v4
	v_mul_f16_e32 v13, 0x3a52, v13
	v_add_f16_e32 v84, v101, v10
	v_mul_f16_e32 v86, 0x3846, v89
	v_fmac_f16_e32 v74, 0xb70e, v1
	v_fmac_f16_e32 v3, 0xb70e, v1
	;; [unrolled: 1-line block ×3, first 2 shown]
	v_add_f16_e32 v1, v76, v19
	v_fmamk_f16 v2, v2, 0x2b26, v0
	v_fma_f16 v73, v75, 0x39e0, -v73
	v_fma_f16 v0, v75, 0xb9e0, -v0
	v_mul_f16_e32 v75, 0x2b26, v15
	v_sub_f16_e32 v70, v68, v70
	v_add_f16_e32 v68, v88, v68
	v_fmamk_f16 v8, v8, 0x2b26, v6
	v_fma_f16 v72, v81, 0x39e0, -v90
	v_fma_f16 v6, v81, 0xb9e0, -v6
	v_mul_f16_e32 v80, 0x3a52, v80
	v_mul_f16_e32 v81, 0x2b26, v71
	;; [unrolled: 1-line block ×3, first 2 shown]
	v_fma_f16 v18, v18, 0xbb00, -v78
	v_fmamk_f16 v78, v20, 0xb574, v78
	v_fmac_f16_e32 v11, 0x3574, v20
	v_add_f16_e32 v20, v77, v5
	v_fmamk_f16 v4, v4, 0xbcab, v83
	v_fmamk_f16 v15, v15, 0x2b26, v13
	;; [unrolled: 1-line block ×3, first 2 shown]
	v_fma_f16 v69, v69, 0xbb00, -v86
	v_fmac_f16_e32 v79, 0xb70e, v7
	v_fmac_f16_e32 v9, 0xb70e, v7
	;; [unrolled: 1-line block ×3, first 2 shown]
	v_fmamk_f16 v7, v19, 0xbcab, v1
	v_fma_f16 v75, v85, 0x39e0, -v75
	v_fma_f16 v13, v85, 0xb9e0, -v13
	v_fmamk_f16 v71, v71, 0x2b26, v80
	v_fma_f16 v76, v87, 0x39e0, -v81
	v_fma_f16 v77, v87, 0xb9e0, -v80
	v_fmamk_f16 v80, v70, 0xb574, v86
	v_fmac_f16_e32 v88, 0x3574, v70
	v_add_f16_e32 v2, v2, v4
	v_add_f16_e32 v19, v73, v4
	v_add_f16_e32 v0, v0, v4
	v_fmac_f16_e32 v18, 0xb70e, v14
	v_fmac_f16_e32 v11, 0xb70e, v14
	v_fmamk_f16 v4, v5, 0xbcab, v20
	v_fmac_f16_e32 v78, 0xb70e, v14
	v_add_f16_e32 v5, v8, v10
	v_add_f16_e32 v8, v72, v10
	v_fmac_f16_e32 v69, 0xb70e, v68
	v_add_f16_e32 v14, v15, v7
	v_add_f16_e32 v15, v75, v7
	;; [unrolled: 1-line block ×4, first 2 shown]
	v_fmac_f16_e32 v80, 0xb70e, v68
	v_fmac_f16_e32 v88, 0xb70e, v68
	v_pack_b32_f16 v10, v20, v84
	v_sub_f16_e32 v20, v0, v11
	v_add_f16_e32 v68, v18, v19
	v_sub_f16_e32 v18, v19, v18
	v_add_f16_e32 v0, v11, v0
	v_add_f16_e32 v11, v71, v4
	;; [unrolled: 1-line block ×4, first 2 shown]
	v_sub_f16_e32 v13, v2, v78
	v_add_f16_e32 v72, v69, v8
	v_sub_f16_e32 v8, v8, v69
	v_add_f16_e32 v69, v74, v14
	v_add_f16_e32 v73, v82, v7
	v_sub_f16_e32 v75, v15, v3
	v_add_f16_e32 v3, v3, v15
	v_sub_f16_e32 v7, v7, v82
	;; [unrolled: 2-line block ×3, first 2 shown]
	v_sub_f16_e32 v70, v5, v80
	v_sub_f16_e32 v71, v6, v88
	v_add_f16_e32 v15, v79, v11
	v_add_f16_e32 v74, v91, v4
	v_pack_b32_f16 v1, v1, v83
	v_add_f16_e32 v6, v88, v6
	v_add_f16_e32 v5, v80, v5
	v_sub_f16_e32 v76, v19, v9
	v_add_f16_e32 v9, v9, v19
	v_sub_f16_e32 v4, v4, v91
	v_sub_f16_e32 v11, v11, v79
	v_pack_b32_f16 v13, v69, v13
	v_pack_b32_f16 v19, v73, v20
	;; [unrolled: 1-line block ×12, first 2 shown]
	ds_store_2addr_b32 v23, v1, v13 offset1:49
	ds_store_2addr_b32 v23, v19, v20 offset0:98 offset1:147
	ds_store_2addr_b32 v23, v3, v0 offset0:196 offset1:245
	;; [unrolled: 1-line block ×6, first 2 shown]
	v_mov_b32_e32 v10, v17
	s_waitcnt lgkmcnt(0)
	s_barrier
	buffer_gl0_inv
	ds_load_2addr_b32 v[2:3], v23 offset1:49
	ds_load_2addr_b32 v[0:1], v53 offset0:38 offset1:87
	ds_load_2addr_b32 v[6:7], v53 offset0:136 offset1:185
	;; [unrolled: 1-line block ×5, first 2 shown]
	v_mad_u64_u32 v[68:69], null, s31, v12, v[10:11]
	ds_load_2addr_b32 v[10:11], v55 offset0:76 offset1:125
	v_mov_b32_e32 v17, v68
	v_mad_u64_u32 v[4:5], null, s28, v24, 0
	s_waitcnt lgkmcnt(6)
	v_lshrrev_b32_e32 v15, 16, v3
	s_waitcnt lgkmcnt(5)
	v_lshrrev_b32_e32 v12, 16, v1
	;; [unrolled: 2-line block ×3, first 2 shown]
	v_lshrrev_b32_e32 v68, 16, v7
	s_waitcnt lgkmcnt(2)
	v_lshrrev_b32_e32 v71, 16, v13
	v_mul_f16_e32 v80, v65, v7
	v_lshrrev_b32_e32 v73, 16, v14
	s_waitcnt lgkmcnt(0)
	v_lshrrev_b32_e32 v75, 16, v10
	v_lshrrev_b32_e32 v77, 16, v11
	v_mul_f16_e32 v78, v67, v1
	v_mul_f16_e32 v79, v66, v6
	;; [unrolled: 1-line block ×4, first 2 shown]
	v_mad_u64_u32 v[69:70], null, s29, v24, v[5:6]
	v_lshrrev_b32_e32 v24, 16, v8
	v_mul_f16_e32 v81, v64, v13
	v_mul_f16_e32 v65, v65, v68
	v_fma_f16 v68, v56, v68, -v80
	v_mul_f16_e32 v64, v64, v71
	v_mul_f16_e32 v82, v63, v14
	;; [unrolled: 1-line block ×5, first 2 shown]
	v_lshrrev_b32_e32 v5, 16, v2
	v_mul_f16_e32 v84, v61, v11
	v_fma_f16 v12, v21, v12, -v78
	v_fma_f16 v20, v22, v20, -v79
	v_mul_f16_e32 v61, v61, v77
	v_fmac_f16_e32 v67, v21, v1
	v_fmac_f16_e32 v66, v22, v6
	v_lshrrev_b32_e32 v70, 16, v9
	v_fma_f16 v71, v57, v71, -v81
	v_fmac_f16_e32 v65, v56, v7
	v_fmac_f16_e32 v64, v57, v13
	v_sub_f16_e32 v7, v24, v68
	v_lshrrev_b32_e32 v72, 16, v18
	v_lshrrev_b32_e32 v74, 16, v19
	v_fma_f16 v73, v58, v73, -v82
	v_fma_f16 v75, v59, v75, -v83
	v_fmac_f16_e32 v63, v58, v14
	v_fmac_f16_e32 v62, v59, v10
	v_lshrrev_b32_e32 v76, 16, v0
	v_fma_f16 v77, v60, v77, -v84
	v_fmac_f16_e32 v61, v60, v11
	v_sub_f16_e32 v1, v5, v12
	v_sub_f16_e32 v6, v15, v20
	;; [unrolled: 1-line block ×6, first 2 shown]
	v_fma_f16 v22, v24, 2.0, -v7
	v_sub_f16_e32 v24, v9, v64
	v_sub_f16_e32 v11, v72, v73
	;; [unrolled: 1-line block ×6, first 2 shown]
	v_fma_f16 v5, v5, 2.0, -v1
	v_fma_f16 v15, v15, 2.0, -v6
	v_sub_f16_e32 v61, v0, v61
	v_fma_f16 v2, v2, 2.0, -v14
	v_fma_f16 v3, v3, 2.0, -v20
	v_pack_b32_f16 v1, v14, v1
	v_fma_f16 v56, v70, 2.0, -v10
	v_fma_f16 v8, v8, 2.0, -v21
	;; [unrolled: 1-line block ×9, first 2 shown]
	v_pack_b32_f16 v2, v2, v5
	ds_store_b32 v23, v1 offset:1372
	v_pack_b32_f16 v1, v3, v15
	v_pack_b32_f16 v6, v20, v6
	;; [unrolled: 1-line block ×12, first 2 shown]
	ds_store_2addr_b32 v23, v2, v1 offset1:49
	ds_store_2addr_b32 v53, v6, v7 offset0:136 offset1:185
	ds_store_2addr_b32 v23, v3, v5 offset0:98 offset1:147
	;; [unrolled: 1-line block ×4, first 2 shown]
	ds_store_b32 v23, v0 offset:1176
	ds_store_2addr_b32 v55, v12, v13 offset0:76 offset1:125
	s_waitcnt lgkmcnt(0)
	s_barrier
	buffer_gl0_inv
	ds_load_2addr_b32 v[14:15], v23 offset1:49
	ds_load_2addr_b32 v[10:11], v23 offset0:98 offset1:147
	v_mov_b32_e32 v5, v69
	ds_load_2addr_b32 v[8:9], v23 offset0:196 offset1:245
	ds_load_2addr_b32 v[6:7], v53 offset0:38 offset1:87
	v_lshlrev_b64 v[12:13], 2, v[16:17]
	v_lshlrev_b64 v[16:17], 2, v[4:5]
	ds_load_2addr_b32 v[4:5], v53 offset0:136 offset1:185
	ds_load_2addr_b32 v[2:3], v54 offset0:106 offset1:155
	;; [unrolled: 1-line block ×3, first 2 shown]
	v_add_co_u32 v12, vcc_lo, s0, v12
	v_add_co_ci_u32_e32 v13, vcc_lo, s1, v13, vcc_lo
	s_delay_alu instid0(VALU_DEP_2) | instskip(NEXT) | instid1(VALU_DEP_2)
	v_add_co_u32 v12, vcc_lo, v12, v16
	v_add_co_ci_u32_e32 v13, vcc_lo, v13, v17, vcc_lo
	s_waitcnt lgkmcnt(6)
	v_lshrrev_b32_e32 v16, 16, v14
	v_mul_f16_e32 v17, v52, v14
	s_waitcnt lgkmcnt(5)
	v_lshrrev_b32_e32 v18, 16, v10
	v_mul_f16_e32 v19, v51, v10
	;; [unrolled: 3-line block ×4, first 2 shown]
	v_mul_f16_e32 v52, v52, v16
	v_fma_f16 v16, v26, v16, -v17
	v_mul_f16_e32 v17, v51, v18
	v_fma_f16 v18, v28, v18, -v19
	s_waitcnt lgkmcnt(2)
	v_lshrrev_b32_e32 v24, 16, v4
	v_mul_f16_e32 v54, v48, v4
	s_waitcnt lgkmcnt(1)
	v_lshrrev_b32_e32 v55, 16, v2
	v_mul_f16_e32 v56, v29, v2
	;; [unrolled: 3-line block ×3, first 2 shown]
	v_fma_f16 v20, v27, v20, -v21
	v_fma_f16 v21, v31, v22, -v23
	v_cvt_f32_f16_e32 v18, v18
	v_mul_f16_e32 v58, v25, v0
	v_mul_f16_e32 v50, v48, v24
	v_fma_f16 v51, v30, v24, -v54
	v_cvt_f32_f16_e32 v16, v16
	v_mul_f16_e32 v54, v29, v55
	v_fma_f16 v29, v33, v55, -v56
	v_mul_f16_e32 v55, v25, v57
	v_cvt_f32_f16_e32 v20, v20
	v_cvt_f32_f16_e32 v21, v21
	v_cvt_f64_f32_e32 v[24:25], v18
	v_mul_f16_e32 v49, v49, v22
	v_cvt_f64_f32_e32 v[22:23], v16
	v_fmac_f16_e32 v52, v26, v14
	v_cvt_f32_f16_e32 v14, v51
	v_cvt_f32_f16_e32 v18, v29
	v_fmac_f16_e32 v17, v28, v10
	v_fmac_f16_e32 v19, v27, v8
	v_cvt_f64_f32_e32 v[26:27], v20
	v_cvt_f64_f32_e32 v[28:29], v21
	v_fmac_f16_e32 v49, v31, v6
	v_fmac_f16_e32 v50, v30, v4
	v_cvt_f64_f32_e32 v[30:31], v14
	v_cvt_f64_f32_e32 v[20:21], v18
	v_fma_f16 v16, v32, v57, -v58
	v_lshrrev_b32_e32 v53, 16, v15
	v_fmac_f16_e32 v54, v33, v2
	v_fmac_f16_e32 v55, v32, v0
	v_cvt_f32_f16_e32 v8, v52
	v_cvt_f32_f16_e32 v2, v16
	v_mul_f16_e32 v48, v47, v53
	v_cvt_f32_f16_e32 v0, v17
	v_cvt_f32_f16_e32 v10, v55
	;; [unrolled: 1-line block ×3, first 2 shown]
	v_cvt_f64_f32_e32 v[16:17], v2
	v_fmac_f16_e32 v48, v46, v15
	v_cvt_f32_f16_e32 v2, v19
	v_cvt_f64_f32_e32 v[18:19], v8
	v_cvt_f64_f32_e32 v[60:61], v10
	v_cvt_f32_f16_e32 v6, v50
	v_cvt_f32_f16_e32 v14, v48
	v_cvt_f64_f32_e32 v[48:49], v0
	v_cvt_f64_f32_e32 v[50:51], v2
	v_mul_f16_e32 v0, v47, v15
	v_cvt_f32_f16_e32 v8, v54
	v_cvt_f64_f32_e32 v[54:55], v4
	v_cvt_f64_f32_e32 v[56:57], v6
	v_add_co_u32 v32, vcc_lo, v12, s25
	v_mul_f64 v[66:67], v[24:25], s[26:27]
	v_mul_f64 v[64:65], v[22:23], s[26:27]
	v_fma_f16 v2, v46, v53, -v0
	v_cvt_f64_f32_e32 v[58:59], v8
	v_add_co_ci_u32_e32 v33, vcc_lo, s30, v13, vcc_lo
	v_add_co_u32 v24, vcc_lo, v32, s25
	v_mul_f64 v[68:69], v[26:27], s[26:27]
	v_mul_f64 v[70:71], v[28:29], s[26:27]
	s_delay_alu instid0(VALU_DEP_4) | instskip(SKIP_3) | instid1(VALU_DEP_4)
	v_add_co_ci_u32_e32 v25, vcc_lo, s30, v33, vcc_lo
	v_mul_f64 v[30:31], v[30:31], s[26:27]
	v_mul_f64 v[46:47], v[20:21], s[26:27]
	v_add_co_u32 v26, vcc_lo, v24, s25
	v_add_co_ci_u32_e32 v27, vcc_lo, s30, v25, vcc_lo
	v_cvt_f32_f16_e32 v2, v2
	s_delay_alu instid0(VALU_DEP_3) | instskip(NEXT) | instid1(VALU_DEP_3)
	v_add_co_u32 v22, vcc_lo, v26, s25
	v_add_co_ci_u32_e32 v23, vcc_lo, s30, v27, vcc_lo
	v_mul_f64 v[20:21], v[16:17], s[26:27]
	s_delay_alu instid0(VALU_DEP_3)
	v_add_co_u32 v16, vcc_lo, v22, s25
	v_mul_f64 v[52:53], v[18:19], s[26:27]
	v_mul_f64 v[18:19], v[60:61], s[26:27]
	v_add_co_ci_u32_e32 v17, vcc_lo, s30, v23, vcc_lo
	v_mul_f64 v[48:49], v[48:49], s[26:27]
	v_cvt_f64_f32_e32 v[28:29], v2
	v_mul_f64 v[50:51], v[50:51], s[26:27]
	v_cvt_f64_f32_e32 v[62:63], v14
	v_mul_f64 v[54:55], v[54:55], s[26:27]
	v_mul_f64 v[56:57], v[56:57], s[26:27]
	v_lshrrev_b32_e32 v0, 16, v11
	v_and_or_b32 v60, 0x1ff, v67, v66
	v_and_or_b32 v2, 0x1ff, v65, v64
	v_lshrrev_b32_e32 v6, 8, v65
	v_mul_f64 v[58:59], v[58:59], s[26:27]
	v_bfe_u32 v8, v65, 20, 11
	v_cmp_ne_u32_e32 vcc_lo, 0, v60
	v_lshrrev_b32_e32 v61, 8, v67
	v_lshrrev_b32_e32 v10, 16, v65
	v_and_or_b32 v64, 0x1ff, v69, v68
	v_and_or_b32 v68, 0x1ff, v71, v70
	v_cndmask_b32_e64 v60, 0, 1, vcc_lo
	v_lshrrev_b32_e32 v65, 8, v69
	v_and_or_b32 v30, 0x1ff, v31, v30
	v_and_or_b32 v46, 0x1ff, v47, v46
	v_cmp_ne_u32_e32 vcc_lo, 0, v68
	v_lshrrev_b32_e32 v72, 8, v31
	v_bfe_u32 v66, v69, 20, 11
	v_sub_nc_u32_e32 v86, 0x3f1, v8
	v_add_nc_u32_e32 v8, 0xfffffc10, v8
	v_cndmask_b32_e64 v68, 0, 1, vcc_lo
	v_cmp_ne_u32_e32 vcc_lo, 0, v30
	v_and_or_b32 v60, 0xffe, v61, v60
	v_bfe_u32 v70, v71, 20, 11
	v_and_or_b32 v20, 0x1ff, v21, v20
	v_lshrrev_b32_e32 v76, 8, v21
	v_cndmask_b32_e64 v30, 0, 1, vcc_lo
	v_cmp_ne_u32_e32 vcc_lo, 0, v46
	v_and_or_b32 v52, 0x1ff, v53, v52
	v_and_or_b32 v18, 0x1ff, v19, v18
	v_bfe_u32 v77, v21, 20, 11
	v_and_or_b32 v48, 0x1ff, v49, v48
	v_cndmask_b32_e64 v46, 0, 1, vcc_lo
	v_cmp_ne_u32_e32 vcc_lo, 0, v2
	v_and_or_b32 v50, 0x1ff, v51, v50
	v_and_or_b32 v54, 0x1ff, v55, v54
	;; [unrolled: 1-line block ×4, first 2 shown]
	v_cndmask_b32_e64 v88, 0, 1, vcc_lo
	v_cmp_ne_u32_e32 vcc_lo, 0, v64
	v_mul_f64 v[14:15], v[62:63], s[26:27]
	v_bfe_u32 v62, v67, 20, 11
	v_and_or_b32 v58, 0x1ff, v59, v58
	v_and_or_b32 v72, 0xffe, v6, v88
	v_cndmask_b32_e64 v64, 0, 1, vcc_lo
	v_cmp_ne_u32_e32 vcc_lo, 0, v20
	v_lshrrev_b32_e32 v63, 16, v67
	v_lshrrev_b32_e32 v67, 16, v69
	;; [unrolled: 1-line block ×4, first 2 shown]
	v_cndmask_b32_e64 v20, 0, 1, vcc_lo
	v_cmp_ne_u32_e32 vcc_lo, 0, v52
	v_sub_nc_u32_e32 v82, 0x3f1, v62
	v_lshrrev_b32_e32 v89, 8, v51
	v_add_nc_u32_e32 v62, 0xfffffc10, v62
	v_and_or_b32 v6, 0xffe, v76, v20
	v_cndmask_b32_e64 v52, 0, 1, vcc_lo
	v_cmp_ne_u32_e32 vcc_lo, 0, v48
	v_sub_nc_u32_e32 v98, 0x3f1, v77
	v_bfe_u32 v99, v19, 20, 11
	v_and_or_b32 v68, 0xffe, v69, v68
	v_or_b32_e32 v103, 0x1000, v72
	v_cndmask_b32_e64 v20, 0, 1, vcc_lo
	v_cmp_ne_u32_e32 vcc_lo, 0, v50
	v_bfe_u32 v73, v31, 20, 11
	v_lshrrev_b32_e32 v74, 8, v47
	v_bfe_u32 v75, v47, 20, 11
	v_and_or_b32 v20, 0xffe, v80, v20
	v_cndmask_b32_e64 v48, 0, 1, vcc_lo
	v_cmp_ne_u32_e32 vcc_lo, 0, v54
	v_lshl_or_b32 v80, v8, 12, v72
	v_sub_nc_u32_e32 v83, 0x3f1, v70
	v_lshrrev_b32_e32 v91, 8, v55
	v_add_nc_u32_e32 v70, 0xfffffc10, v70
	v_cndmask_b32_e64 v50, 0, 1, vcc_lo
	v_cmp_ne_u32_e32 vcc_lo, 0, v56
	v_and_or_b32 v64, 0xffe, v65, v64
	v_sub_nc_u32_e32 v88, 0x3f1, v99
	v_and_or_b32 v48, 0xffe, v89, v48
	v_lshl_or_b32 v89, v62, 12, v60
	v_cndmask_b32_e64 v54, 0, 1, vcc_lo
	v_cmp_ne_u32_e32 vcc_lo, 0, v58
	v_med3_i32 v58, v98, 0, 13
	v_add_nc_u32_e32 v98, 0xfffffc10, v99
	v_or_b32_e32 v99, 0x1000, v60
	v_sub_nc_u32_e32 v84, 0x3f1, v73
	v_cndmask_b32_e64 v56, 0, 1, vcc_lo
	v_cmp_ne_u32_e32 vcc_lo, 0, v18
	v_sub_nc_u32_e32 v85, 0x3f1, v75
	v_sub_nc_u32_e32 v87, 0x3f1, v66
	v_lshrrev_b32_e32 v93, 8, v57
	v_add_nc_u32_e32 v66, 0xfffffc10, v66
	v_cndmask_b32_e64 v18, 0, 1, vcc_lo
	v_cmp_ne_u32_e32 vcc_lo, 0, v72
	v_add_nc_u32_e32 v2, 0xfffffc10, v77
	v_med3_i32 v77, v82, 0, 13
	v_med3_i32 v82, v83, 0, 13
	v_and_or_b32 v46, 0xffe, v74, v46
	v_cndmask_b32_e64 v72, 0, 1, vcc_lo
	v_cmp_ne_u32_e32 vcc_lo, 0, v60
	v_or_b32_e32 v100, 0x1000, v68
	v_and_or_b32 v50, 0xffe, v91, v50
	v_lshl_or_b32 v91, v70, 12, v68
	v_lshrrev_b32_e32 v95, 8, v59
	v_cndmask_b32_e64 v60, 0, 1, vcc_lo
	v_cmp_ne_u32_e32 vcc_lo, 0, v68
	v_med3_i32 v83, v84, 0, 13
	v_med3_i32 v84, v85, 0, 13
	v_or_b32_e32 v101, 0x1000, v30
	v_or_b32_e32 v102, 0x1000, v46
	v_cndmask_b32_e64 v68, 0, 1, vcc_lo
	v_cmp_ne_u32_e32 vcc_lo, 0, v64
	v_or_b32_e32 v104, 0x1000, v64
	v_and_or_b32 v54, 0xffe, v93, v54
	v_lshl_or_b32 v93, v66, 12, v64
	v_lshrrev_b32_e32 v105, v82, v100
	v_cndmask_b32_e64 v64, 0, 1, vcc_lo
	v_cmp_ne_u32_e32 vcc_lo, 0, v30
	v_lshl_or_b32 v60, v60, 9, 0x7c00
	v_add_nc_u32_e32 v73, 0xfffffc10, v73
	v_lshrrev_b32_e32 v78, 8, v53
	v_bfe_u32 v79, v53, 20, 11
	v_lshrrev_b32_e32 v97, 8, v19
	v_med3_i32 v61, v86, 0, 13
	v_and_or_b32 v56, 0xffe, v95, v56
	v_lshl_or_b32 v95, v73, 12, v30
	v_cndmask_b32_e64 v30, 0, 1, vcc_lo
	v_lshrrev_b32_e32 v106, v83, v101
	v_lshlrev_b32_e32 v82, v82, v105
	v_cmp_ne_u32_e32 vcc_lo, 0, v46
	v_lshrrev_b32_e32 v107, v84, v102
	v_lshl_or_b32 v64, v64, 9, 0x7c00
	v_add_nc_u32_e32 v75, 0xfffffc10, v75
	v_bfe_u32 v81, v49, 20, 11
	v_bfe_u32 v90, v51, 20, 11
	v_med3_i32 v69, v87, 0, 13
	v_sub_nc_u32_e32 v65, 0x3f1, v79
	v_and_or_b32 v52, 0xffe, v78, v52
	v_or_b32_e32 v78, 0x1000, v6
	v_and_or_b32 v18, 0xffe, v97, v18
	v_lshl_or_b32 v97, v75, 12, v46
	v_cndmask_b32_e64 v46, 0, 1, vcc_lo
	v_lshlrev_b32_e32 v83, v83, v106
	v_cmp_ne_u32_e32 vcc_lo, v82, v100
	v_lshrrev_b32_e32 v100, v61, v103
	v_lshlrev_b32_e32 v84, v84, v107
	v_bfe_u32 v92, v55, 20, 11
	v_sub_nc_u32_e32 v74, 0x3f1, v81
	v_sub_nc_u32_e32 v85, 0x3f1, v90
	v_med3_i32 v65, v65, 0, 13
	v_cmp_ne_u32_e64 s0, v83, v101
	v_lshrrev_b32_e32 v83, v69, v104
	v_lshrrev_b32_e32 v101, v58, v78
	v_lshlrev_b32_e32 v61, v61, v100
	v_cmp_ne_u32_e64 s1, v84, v102
	v_or_b32_e32 v84, 0x1000, v52
	v_bfe_u32 v94, v57, 20, 11
	v_sub_nc_u32_e32 v86, 0x3f1, v92
	v_med3_i32 v74, v74, 0, 13
	v_med3_i32 v85, v85, 0, 13
	v_or_b32_e32 v102, 0x1000, v20
	v_lshlrev_b32_e32 v69, v69, v83
	v_cmp_ne_u32_e64 s2, v61, v103
	v_or_b32_e32 v61, 0x1000, v48
	v_lshrrev_b32_e32 v103, v65, v84
	v_lshlrev_b32_e32 v58, v58, v101
	v_sub_nc_u32_e32 v87, 0x3f1, v94
	v_med3_i32 v86, v86, 0, 13
	v_cmp_ne_u32_e64 s3, v69, v104
	v_or_b32_e32 v69, 0x1000, v50
	v_lshrrev_b32_e32 v104, v74, v102
	v_lshlrev_b32_e32 v65, v65, v103
	v_cmp_ne_u32_e64 s4, v58, v78
	v_lshrrev_b32_e32 v78, v85, v61
	v_add_nc_u32_e32 v76, 0xfffffc10, v79
	v_med3_i32 v87, v87, 0, 13
	v_or_b32_e32 v58, 0x1000, v54
	v_lshlrev_b32_e32 v74, v74, v104
	v_cmp_ne_u32_e64 s5, v65, v84
	v_lshrrev_b32_e32 v84, v86, v69
	v_lshlrev_b32_e32 v85, v85, v78
	v_cmp_ne_u32_e64 s12, 0, v52
	v_med3_i32 v88, v88, 0, 13
	v_cmp_ne_u32_e64 s6, v74, v102
	v_or_b32_e32 v74, 0x1000, v18
	v_lshrrev_b32_e32 v102, v87, v58
	v_lshlrev_b32_e32 v86, v86, v84
	v_cmp_ne_u32_e64 s7, v85, v61
	v_lshl_or_b32 v61, v76, 12, v52
	v_lshl_or_b32 v68, v68, 9, 0x7c00
	v_add_nc_u32_e32 v81, 0xfffffc10, v81
	v_cndmask_b32_e64 v52, 0, 1, s12
	v_cmp_ne_u32_e64 s12, 0, v20
	v_lshrrev_b32_e32 v82, v77, v99
	v_cmp_ne_u32_e64 s8, v86, v69
	v_lshrrev_b32_e32 v69, v88, v74
	v_lshl_or_b32 v86, v81, 12, v20
	v_cndmask_b32_e64 v20, 0, 1, s12
	v_lshl_or_b32 v52, v52, 9, 0x7c00
	v_lshlrev_b32_e32 v87, v87, v102
	v_bfe_u32 v96, v59, 20, 11
	v_or_b32_e32 v65, 0x1000, v56
	v_lshl_or_b32 v20, v20, 9, 0x7c00
	v_lshlrev_b32_e32 v77, v77, v82
	v_cmp_ne_u32_e64 s9, v87, v58
	v_lshlrev_b32_e32 v87, v88, v69
	v_sub_nc_u32_e32 v79, 0x3f1, v96
	v_add_nc_u32_e32 v90, 0xfffffc10, v90
	v_add_nc_u32_e32 v92, 0xfffffc10, v92
	;; [unrolled: 1-line block ×3, first 2 shown]
	v_cmp_ne_u32_e64 s11, v87, v74
	v_cndmask_b32_e64 v87, 0, 1, s2
	v_cmp_ne_u32_e64 s2, v77, v99
	v_med3_i32 v79, v79, 0, 13
	v_cndmask_b32_e64 v99, 0, 1, s3
	v_lshl_or_b32 v58, v90, 12, v48
	v_or_b32_e32 v87, v100, v87
	v_cndmask_b32_e64 v77, 0, 1, s2
	v_cndmask_b32_e64 v100, 0, 1, vcc_lo
	v_cmp_gt_i32_e32 vcc_lo, 1, v8
	v_lshrrev_b32_e32 v85, v79, v65
	v_or_b32_e32 v83, v83, v99
	v_or_b32_e32 v77, v82, v77
	v_cndmask_b32_e64 v82, 0, 1, s0
	v_cndmask_b32_e32 v80, v80, v87, vcc_lo
	v_cmp_gt_i32_e32 vcc_lo, 1, v62
	v_lshlrev_b32_e32 v79, v79, v85
	v_or_b32_e32 v100, v105, v100
	v_cndmask_b32_e64 v87, 0, 1, s8
	v_cndmask_b32_e64 v99, 0, 1, s1
	v_cndmask_b32_e32 v77, v89, v77, vcc_lo
	v_cmp_gt_i32_e32 vcc_lo, 1, v66
	v_cmp_ne_u32_e64 s10, v79, v65
	v_or_b32_e32 v82, v106, v82
	v_or_b32_e32 v84, v84, v87
	v_cndmask_b32_e64 v105, 0, 1, s5
	v_cndmask_b32_e32 v83, v93, v83, vcc_lo
	v_cmp_gt_i32_e32 vcc_lo, 1, v70
	v_or_b32_e32 v99, v107, v99
	v_cndmask_b32_e64 v89, 0, 1, s10
	v_cndmask_b32_e64 v107, 0, 1, s6
	v_or_b32_e32 v103, v103, v105
	v_cndmask_b32_e32 v87, v91, v100, vcc_lo
	v_cmp_gt_i32_e32 vcc_lo, 1, v73
	v_or_b32_e32 v85, v85, v89
	v_cndmask_b32_e64 v105, 0, 1, s7
	v_or_b32_e32 v104, v104, v107
	v_lshl_or_b32 v88, v92, 12, v50
	v_cndmask_b32_e32 v82, v95, v82, vcc_lo
	v_cmp_gt_i32_e32 vcc_lo, 1, v75
	v_or_b32_e32 v78, v78, v105
	v_cndmask_b32_e64 v107, 0, 1, s9
	v_add_nc_u32_e32 v96, 0xfffffc10, v96
	v_lshl_or_b32 v65, v94, 12, v54
	v_cndmask_b32_e32 v89, v97, v99, vcc_lo
	v_cmp_gt_i32_e32 vcc_lo, 1, v76
	v_or_b32_e32 v91, v102, v107
	v_lshl_or_b32 v79, v96, 12, v56
	v_cmp_ne_u32_e64 s12, 0, v48
	v_cndmask_b32_e64 v105, 0, 1, s11
	v_cndmask_b32_e32 v61, v61, v103, vcc_lo
	v_cmp_gt_i32_e32 vcc_lo, 1, v81
	v_lshl_or_b32 v74, v98, 12, v18
	v_cndmask_b32_e64 v48, 0, 1, s12
	v_cmp_ne_u32_e64 s12, 0, v50
	v_or_b32_e32 v69, v69, v105
	v_cndmask_b32_e32 v86, v86, v104, vcc_lo
	v_cmp_gt_i32_e32 vcc_lo, 1, v90
	v_lshl_or_b32 v30, v30, 9, 0x7c00
	v_cndmask_b32_e64 v50, 0, 1, s12
	v_cmp_ne_u32_e64 s12, 0, v54
	v_cndmask_b32_e64 v106, 0, 1, s4
	v_cndmask_b32_e32 v58, v58, v78, vcc_lo
	v_cmp_gt_i32_e32 vcc_lo, 1, v92
	v_lshl_or_b32 v48, v48, 9, 0x7c00
	v_cndmask_b32_e64 v54, 0, 1, s12
	v_cmp_ne_u32_e64 s12, 0, v56
	v_lshl_or_b32 v46, v46, 9, 0x7c00
	v_cndmask_b32_e32 v78, v88, v84, vcc_lo
	v_cmp_gt_i32_e32 vcc_lo, 1, v94
	v_and_b32_e32 v84, 7, v80
	v_lshrrev_b32_e32 v80, 2, v80
	v_and_b32_e32 v88, 7, v87
	v_cndmask_b32_e64 v56, 0, 1, s12
	v_cndmask_b32_e32 v65, v65, v91, vcc_lo
	v_cmp_gt_i32_e32 vcc_lo, 1, v96
	v_cmp_eq_u32_e64 s0, 3, v84
	v_and_b32_e32 v91, 7, v82
	v_cmp_lt_i32_e64 s5, 5, v88
	v_cmp_eq_u32_e64 s6, 3, v88
	v_cndmask_b32_e32 v79, v79, v85, vcc_lo
	v_cmp_gt_i32_e32 vcc_lo, 1, v98
	v_and_b32_e32 v85, 7, v77
	v_lshrrev_b32_e32 v77, 2, v77
	v_and_b32_e32 v93, 7, v89
	v_lshrrev_b32_e32 v87, 2, v87
	v_dual_cndmask_b32 v69, v74, v69 :: v_dual_and_b32 v74, 7, v83
	v_cmp_lt_i32_e32 vcc_lo, 5, v84
	v_cmp_lt_i32_e64 s1, 5, v85
	v_cmp_eq_u32_e64 s2, 3, v85
	v_lshrrev_b32_e32 v83, 2, v83
	v_cmp_lt_i32_e64 s3, 5, v74
	v_cmp_eq_u32_e64 s4, 3, v74
	v_and_b32_e32 v74, 7, v61
	s_or_b32 vcc_lo, s0, vcc_lo
	v_cmp_lt_i32_e64 s7, 5, v91
	v_cmp_eq_u32_e64 s8, 3, v91
	v_lshrrev_b32_e32 v82, 2, v82
	v_cmp_lt_i32_e64 s11, 5, v74
	v_cmp_eq_u32_e64 s12, 3, v74
	v_add_co_ci_u32_e32 v74, vcc_lo, 0, v80, vcc_lo
	s_or_b32 vcc_lo, s2, s1
	v_cmp_lt_i32_e64 s9, 5, v93
	v_add_co_ci_u32_e32 v77, vcc_lo, 0, v77, vcc_lo
	s_or_b32 vcc_lo, s4, s3
	v_cmp_eq_u32_e64 s10, 3, v93
	v_add_co_ci_u32_e32 v80, vcc_lo, 0, v83, vcc_lo
	s_or_b32 vcc_lo, s6, s5
	v_lshrrev_b32_e32 v89, 2, v89
	v_add_co_ci_u32_e32 v83, vcc_lo, 0, v87, vcc_lo
	v_and_b32_e32 v84, 7, v86
	s_or_b32 vcc_lo, s8, s7
	v_and_b32_e32 v85, 7, v58
	v_add_co_ci_u32_e32 v82, vcc_lo, 0, v82, vcc_lo
	s_or_b32 vcc_lo, s10, s9
	v_cmp_lt_i32_e64 s13, 5, v84
	v_cmp_eq_u32_e64 s14, 3, v84
	v_add_co_ci_u32_e32 v84, vcc_lo, 0, v89, vcc_lo
	v_cmp_gt_i32_e32 vcc_lo, 31, v8
	v_lshrrev_b32_e32 v61, 2, v61
	v_and_b32_e32 v88, 7, v78
	v_lshrrev_b32_e32 v86, 2, v86
	v_cmp_lt_i32_e64 s15, 5, v85
	v_cndmask_b32_e32 v74, 0x7c00, v74, vcc_lo
	v_cmp_gt_i32_e32 vcc_lo, 31, v62
	v_cmp_eq_u32_e64 s16, 3, v85
	v_lshl_or_b32 v50, v50, 9, 0x7c00
	v_and_b32_e32 v91, 7, v65
	v_lshrrev_b32_e32 v58, 2, v58
	v_cndmask_b32_e32 v77, 0x7c00, v77, vcc_lo
	v_cmp_gt_i32_e32 vcc_lo, 31, v66
	v_cmp_lt_i32_e64 s17, 5, v88
	v_cmp_eq_u32_e64 s18, 3, v88
	v_lshrrev_b32_e32 v78, 2, v78
	v_cmp_lt_i32_e64 s19, 5, v91
	v_cndmask_b32_e32 v80, 0x7c00, v80, vcc_lo
	v_cmp_gt_i32_e32 vcc_lo, 31, v70
	v_cmp_eq_u32_e64 s20, 3, v91
	v_lshrrev_b32_e32 v65, 2, v65
	v_lshl_or_b32 v54, v54, 9, 0x7c00
	v_and_b32_e32 v93, 7, v79
	v_cndmask_b32_e32 v83, 0x7c00, v83, vcc_lo
	s_or_b32 vcc_lo, s12, s11
	v_lshrrev_b32_e32 v79, 2, v79
	v_add_co_ci_u32_e32 v61, vcc_lo, 0, v61, vcc_lo
	s_or_b32 vcc_lo, s14, s13
	v_cmp_lt_i32_e64 s21, 5, v93
	v_add_co_ci_u32_e32 v85, vcc_lo, 0, v86, vcc_lo
	s_or_b32 vcc_lo, s16, s15
	v_cmp_eq_u32_e64 s22, 3, v93
	v_add_co_ci_u32_e32 v58, vcc_lo, 0, v58, vcc_lo
	s_or_b32 vcc_lo, s18, s17
	v_lshl_or_b32 v72, v72, 9, 0x7c00
	v_add_co_ci_u32_e32 v78, vcc_lo, 0, v78, vcc_lo
	s_or_b32 vcc_lo, s20, s19
	v_lshrrev_b32_e32 v47, 16, v47
	v_add_co_ci_u32_e32 v65, vcc_lo, 0, v65, vcc_lo
	v_cmp_gt_i32_e32 vcc_lo, 31, v73
	v_lshrrev_b32_e32 v53, 16, v53
	v_lshrrev_b32_e32 v49, 16, v49
	;; [unrolled: 1-line block ×4, first 2 shown]
	v_cndmask_b32_e32 v82, 0x7c00, v82, vcc_lo
	s_or_b32 vcc_lo, s22, s21
	v_lshrrev_b32_e32 v71, 16, v71
	v_add_co_ci_u32_e32 v79, vcc_lo, 0, v79, vcc_lo
	v_cmp_gt_i32_e32 vcc_lo, 31, v75
	v_mul_f16_e32 v4, v45, v0
	v_lshrrev_b32_e32 v31, 16, v31
	v_lshl_or_b32 v56, v56, 9, 0x7c00
	v_dual_cndmask_b32 v84, 0x7c00, v84 :: v_dual_and_b32 v95, 7, v69
	v_cmp_eq_u32_e32 vcc_lo, 0x40f, v8
	v_fmac_f16_e32 v4, v43, v11
	v_lshrrev_b32_e32 v69, 2, v69
	s_delay_alu instid0(VALU_DEP_4)
	v_cmp_lt_i32_e64 s23, 5, v95
	v_cmp_eq_u32_e64 s24, 3, v95
	v_cndmask_b32_e32 v8, v74, v72, vcc_lo
	v_cmp_eq_u32_e32 vcc_lo, 0x40f, v62
	v_cvt_f32_f16_e32 v4, v4
	v_and_or_b32 v14, 0x1ff, v15, v14
	v_mul_f16_e32 v11, v45, v11
	v_and_or_b32 v8, 0x8000, v10, v8
	v_cndmask_b32_e32 v60, v77, v60, vcc_lo
	v_cmp_eq_u32_e32 vcc_lo, 0x40f, v66
	v_lshrrev_b32_e32 v57, 16, v57
	v_fma_f16 v0, v43, v0, -v11
	v_lshrrev_b32_e32 v59, 16, v59
	v_lshrrev_b32_e32 v21, 16, v21
	v_cndmask_b32_e32 v62, v80, v64, vcc_lo
	v_cmp_eq_u32_e32 vcc_lo, 0x40f, v70
	v_cvt_f32_f16_e32 v0, v0
	s_mul_i32 s2, s29, 0xfffff794
	v_cndmask_b32_e32 v64, v83, v68, vcc_lo
	v_cmp_gt_i32_e32 vcc_lo, 31, v76
	v_cndmask_b32_e32 v61, 0x7c00, v61, vcc_lo
	v_cmp_gt_i32_e32 vcc_lo, 31, v81
	;; [unrolled: 2-line block ×5, first 2 shown]
	v_cndmask_b32_e32 v65, 0x7c00, v65, vcc_lo
	v_cmp_eq_u32_e32 vcc_lo, 0x40f, v73
	v_cndmask_b32_e32 v30, v82, v30, vcc_lo
	v_cmp_gt_i32_e32 vcc_lo, 31, v96
	s_delay_alu instid0(VALU_DEP_2) | instskip(SKIP_4) | instid1(VALU_DEP_2)
	v_and_or_b32 v30, 0x8000, v31, v30
	v_cndmask_b32_e32 v70, 0x7c00, v79, vcc_lo
	v_cmp_eq_u32_e32 vcc_lo, 0x40f, v75
	v_cndmask_b32_e32 v46, v84, v46, vcc_lo
	v_cmp_eq_u32_e32 vcc_lo, 0x40f, v76
	v_and_or_b32 v46, 0x8000, v47, v46
	v_cndmask_b32_e32 v52, v61, v52, vcc_lo
	v_cmp_eq_u32_e32 vcc_lo, 0x40f, v81
	s_delay_alu instid0(VALU_DEP_2)
	v_and_or_b32 v47, 0x8000, v53, v52
	v_cndmask_b32_e32 v10, v66, v20, vcc_lo
	v_cmp_eq_u32_e32 vcc_lo, 0x40f, v90
	v_and_or_b32 v20, 0x8000, v63, v60
	v_and_or_b32 v60, 0x8000, v71, v64
	v_and_b32_e32 v47, 0xffff, v47
	v_and_or_b32 v10, 0x8000, v49, v10
	v_cndmask_b32_e32 v48, v58, v48, vcc_lo
	v_cmp_eq_u32_e32 vcc_lo, 0x40f, v92
	v_and_or_b32 v58, 0x8000, v67, v62
	v_lshl_or_b32 v8, v8, 16, v47
	v_and_b32_e32 v10, 0xffff, v10
	v_and_or_b32 v48, 0x8000, v51, v48
	v_cndmask_b32_e32 v50, v68, v50, vcc_lo
	v_cmp_eq_u32_e32 vcc_lo, 0x40f, v94
	s_delay_alu instid0(VALU_DEP_4) | instskip(NEXT) | instid1(VALU_DEP_4)
	v_lshl_or_b32 v10, v20, 16, v10
	v_and_b32_e32 v48, 0xffff, v48
	s_delay_alu instid0(VALU_DEP_4) | instskip(SKIP_2) | instid1(VALU_DEP_4)
	v_and_or_b32 v49, 0x8000, v55, v50
	v_cndmask_b32_e32 v54, v65, v54, vcc_lo
	v_cmp_eq_u32_e32 vcc_lo, 0x40f, v96
	v_lshl_or_b32 v20, v58, 16, v48
	s_delay_alu instid0(VALU_DEP_4) | instskip(NEXT) | instid1(VALU_DEP_4)
	v_and_b32_e32 v49, 0xffff, v49
	v_and_or_b32 v50, 0x8000, v57, v54
	v_cndmask_b32_e32 v31, v70, v56, vcc_lo
	v_cmp_gt_i32_e32 vcc_lo, 1, v2
	s_delay_alu instid0(VALU_DEP_4)
	v_lshl_or_b32 v47, v60, 16, v49
	s_clause 0x3
	global_store_b32 v[12:13], v8, off
	global_store_b32 v[32:33], v10, off
	;; [unrolled: 1-line block ×4, first 2 shown]
	v_or_b32_e32 v8, v101, v106
	v_lshl_or_b32 v10, v2, 12, v6
	v_cvt_f64_f32_e32 v[24:25], v4
	v_mul_f64 v[12:13], v[28:29], s[26:27]
	v_lshrrev_b32_e32 v20, 8, v15
	v_bfe_u32 v26, v15, 20, 11
	v_cndmask_b32_e32 v8, v10, v8, vcc_lo
	s_or_b32 vcc_lo, s24, s23
	v_and_or_b32 v31, 0x8000, v59, v31
	v_add_co_ci_u32_e32 v10, vcc_lo, 0, v69, vcc_lo
	v_cmp_ne_u32_e32 vcc_lo, 0, v18
	v_and_b32_e32 v18, 7, v8
	v_lshrrev_b32_e32 v8, 2, v8
	v_and_b32_e32 v50, 0xffff, v50
	v_lshrrev_b32_e32 v15, 16, v15
	v_cndmask_b32_e64 v4, 0, 1, vcc_lo
	v_cmp_ne_u32_e32 vcc_lo, 0, v14
	v_cmp_eq_u32_e64 s0, 3, v18
	v_lshl_or_b32 v30, v30, 16, v50
	s_delay_alu instid0(VALU_DEP_4) | instskip(SKIP_2) | instid1(VALU_DEP_2)
	v_lshl_or_b32 v4, v4, 9, 0x7c00
	v_cndmask_b32_e64 v14, 0, 1, vcc_lo
	v_cmp_gt_i32_e32 vcc_lo, 31, v98
	v_and_or_b32 v14, 0xffe, v20, v14
	v_cndmask_b32_e32 v10, 0x7c00, v10, vcc_lo
	v_cmp_lt_i32_e32 vcc_lo, 5, v18
	v_sub_nc_u32_e32 v20, 0x3f1, v26
	s_delay_alu instid0(VALU_DEP_4) | instskip(SKIP_1) | instid1(VALU_DEP_2)
	v_or_b32_e32 v27, 0x1000, v14
	s_or_b32 vcc_lo, s0, vcc_lo
	v_med3_i32 v18, v20, 0, 13
	v_add_co_ci_u32_e32 v8, vcc_lo, 0, v8, vcc_lo
	v_cmp_ne_u32_e32 vcc_lo, 0, v6
	s_delay_alu instid0(VALU_DEP_3) | instskip(SKIP_3) | instid1(VALU_DEP_4)
	v_lshrrev_b32_e32 v20, v18, v27
	v_and_or_b32 v12, 0x1ff, v13, v12
	v_cndmask_b32_e64 v6, 0, 1, vcc_lo
	v_cmp_eq_u32_e32 vcc_lo, 0x40f, v98
	v_lshlrev_b32_e32 v28, v18, v20
	s_delay_alu instid0(VALU_DEP_3)
	v_lshl_or_b32 v6, v6, 9, 0x7c00
	v_cndmask_b32_e32 v4, v10, v4, vcc_lo
	v_cmp_gt_i32_e32 vcc_lo, 31, v2
	v_cvt_f64_f32_e32 v[10:11], v0
	v_lshrrev_b32_e32 v0, 16, v19
	v_mul_f64 v[18:19], v[24:25], s[26:27]
	v_lshrrev_b32_e32 v24, 8, v13
	v_cndmask_b32_e32 v8, 0x7c00, v8, vcc_lo
	v_cmp_eq_u32_e32 vcc_lo, 0x40f, v2
	v_bfe_u32 v25, v13, 20, 11
	v_and_or_b32 v0, 0x8000, v0, v4
	s_delay_alu instid0(VALU_DEP_4) | instskip(SKIP_2) | instid1(VALU_DEP_4)
	v_cndmask_b32_e32 v2, v8, v6, vcc_lo
	v_cmp_ne_u32_e32 vcc_lo, v28, v27
	v_add_nc_u32_e32 v8, 0xfffffc10, v26
	v_and_b32_e32 v0, 0xffff, v0
	s_delay_alu instid0(VALU_DEP_4) | instskip(SKIP_2) | instid1(VALU_DEP_3)
	v_and_or_b32 v2, 0x8000, v21, v2
	v_cndmask_b32_e64 v6, 0, 1, vcc_lo
	v_cmp_ne_u32_e32 vcc_lo, 0, v12
	v_lshl_or_b32 v0, v2, 16, v0
	s_delay_alu instid0(VALU_DEP_3) | instskip(SKIP_4) | instid1(VALU_DEP_4)
	v_or_b32_e32 v6, v20, v6
	v_cndmask_b32_e64 v12, 0, 1, vcc_lo
	v_lshl_or_b32 v20, v8, 12, v14
	v_cmp_gt_i32_e32 vcc_lo, 1, v8
	v_and_b32_e32 v31, 0xffff, v31
	v_and_or_b32 v12, 0xffe, v24, v12
	v_sub_nc_u32_e32 v24, 0x3f1, v25
	v_cndmask_b32_e32 v4, v20, v6, vcc_lo
	s_delay_alu instid0(VALU_DEP_4)
	v_lshl_or_b32 v31, v46, 16, v31
	global_store_b32 v[22:23], v30, off
	global_store_b32 v[16:17], v31, off
	v_or_b32_e32 v6, 0x1000, v12
	v_med3_i32 v20, v24, 0, 13
	v_and_b32_e32 v21, 7, v4
	v_lshrrev_b32_e32 v2, 2, v4
	v_add_co_u32 v16, s1, v16, s25
	s_delay_alu instid0(VALU_DEP_4) | instskip(NEXT) | instid1(VALU_DEP_4)
	v_lshrrev_b32_e32 v22, v20, v6
	v_cmp_lt_i32_e32 vcc_lo, 5, v21
	v_cmp_eq_u32_e64 s0, 3, v21
	v_add_co_ci_u32_e64 v17, s1, s30, v17, s1
	s_delay_alu instid0(VALU_DEP_4) | instskip(SKIP_1) | instid1(VALU_DEP_4)
	v_lshlrev_b32_e32 v4, v20, v22
	v_mul_f64 v[10:11], v[10:11], s[26:27]
	s_or_b32 vcc_lo, s0, vcc_lo
	v_lshrrev_b32_e32 v23, 16, v9
	v_add_co_ci_u32_e32 v2, vcc_lo, 0, v2, vcc_lo
	v_cmp_ne_u32_e64 s1, v4, v6
	v_and_or_b32 v6, 0x1ff, v19, v18
	v_add_nc_u32_e32 v18, 0xfffffc10, v25
	v_mul_f16_e32 v20, v44, v23
	v_lshrrev_b32_e32 v24, 8, v19
	v_cndmask_b32_e64 v4, 0, 1, s1
	v_cmp_ne_u32_e32 vcc_lo, 0, v6
	v_bfe_u32 v25, v19, 20, 11
	v_fmac_f16_e32 v20, v41, v9
	v_mul_f16_e32 v9, v44, v9
	v_or_b32_e32 v4, v22, v4
	v_lshl_or_b32 v22, v18, 12, v12
	v_cndmask_b32_e64 v6, 0, 1, vcc_lo
	v_cmp_gt_i32_e32 vcc_lo, 1, v18
	v_fma_f16 v9, v41, v23, -v9
	v_cmp_eq_u32_e64 s1, 0x40f, v8
	v_cvt_f32_f16_e32 v20, v20
	v_and_or_b32 v6, 0xffe, v24, v6
	v_cndmask_b32_e32 v4, v22, v4, vcc_lo
	v_cmp_ne_u32_e32 vcc_lo, 0, v14
	v_sub_nc_u32_e32 v22, 0x3f1, v25
	v_add_nc_u32_e32 v25, 0xfffffc10, v25
	v_or_b32_e32 v26, 0x1000, v6
	v_and_b32_e32 v24, 7, v4
	v_cndmask_b32_e64 v14, 0, 1, vcc_lo
	v_cmp_gt_i32_e32 vcc_lo, 31, v8
	v_med3_i32 v22, v22, 0, 13
	v_lshrrev_b32_e32 v4, 2, v4
	v_cmp_eq_u32_e64 s0, 3, v24
	v_lshl_or_b32 v14, v14, 9, 0x7c00
	v_cndmask_b32_e32 v2, 0x7c00, v2, vcc_lo
	v_cmp_lt_i32_e32 vcc_lo, 5, v24
	v_lshrrev_b32_e32 v8, v22, v26
	v_cvt_f32_f16_e32 v9, v9
	v_and_or_b32 v10, 0x1ff, v11, v10
	v_cndmask_b32_e64 v2, v2, v14, s1
	s_or_b32 vcc_lo, s0, vcc_lo
	v_lshlrev_b32_e32 v14, v22, v8
	v_add_co_ci_u32_e32 v4, vcc_lo, 0, v4, vcc_lo
	v_cmp_ne_u32_e32 vcc_lo, 0, v12
	v_cvt_f64_f32_e32 v[22:23], v9
	v_cvt_f64_f32_e32 v[20:21], v20
	v_bfe_u32 v24, v11, 20, 11
	global_store_b32 v[16:17], v0, off
	v_cndmask_b32_e64 v12, 0, 1, vcc_lo
	v_cmp_gt_i32_e32 vcc_lo, 31, v18
	v_and_or_b32 v2, 0x8000, v15, v2
	v_lshrrev_b32_e32 v19, 16, v19
	s_delay_alu instid0(VALU_DEP_4)
	v_lshl_or_b32 v12, v12, 9, 0x7c00
	v_cndmask_b32_e32 v4, 0x7c00, v4, vcc_lo
	v_cmp_ne_u32_e32 vcc_lo, 0, v10
	v_lshrrev_b32_e32 v10, 8, v11
	v_and_b32_e32 v2, 0xffff, v2
	v_cndmask_b32_e64 v9, 0, 1, vcc_lo
	v_cmp_ne_u32_e32 vcc_lo, v14, v26
	s_delay_alu instid0(VALU_DEP_2) | instskip(SKIP_3) | instid1(VALU_DEP_4)
	v_and_or_b32 v10, 0xffe, v10, v9
	v_sub_nc_u32_e32 v9, 0x3f1, v24
	v_cndmask_b32_e64 v14, 0, 1, vcc_lo
	v_cmp_eq_u32_e32 vcc_lo, 0x40f, v18
	v_or_b32_e32 v26, 0x1000, v10
	s_delay_alu instid0(VALU_DEP_4) | instskip(NEXT) | instid1(VALU_DEP_4)
	v_med3_i32 v9, v9, 0, 13
	v_or_b32_e32 v8, v8, v14
	v_cndmask_b32_e32 v4, v4, v12, vcc_lo
	v_lshrrev_b32_e32 v12, 16, v13
	v_lshl_or_b32 v14, v25, 12, v6
	v_lshrrev_b32_e32 v18, v9, v26
	v_cmp_gt_i32_e32 vcc_lo, 1, v25
	s_delay_alu instid0(VALU_DEP_4) | instskip(NEXT) | instid1(VALU_DEP_3)
	v_and_or_b32 v0, 0x8000, v12, v4
	v_lshlrev_b32_e32 v12, v9, v18
	v_cndmask_b32_e32 v14, v14, v8, vcc_lo
	v_mul_f64 v[20:21], v[20:21], s[26:27]
	v_mad_u64_u32 v[8:9], null, 0xfffff794, s28, v[16:17]
	s_delay_alu instid0(VALU_DEP_4)
	v_cmp_ne_u32_e64 s1, v12, v26
	v_mul_f64 v[12:13], v[22:23], s[26:27]
	v_and_b32_e32 v4, 7, v14
	v_lshrrev_b32_e32 v14, 2, v14
	v_add_nc_u32_e32 v16, 0xfffffc10, v24
	v_lshrrev_b32_e32 v17, 16, v7
	v_lshl_or_b32 v0, v0, 16, v2
	v_cmp_lt_i32_e32 vcc_lo, 5, v4
	v_cmp_eq_u32_e64 s0, 3, v4
	v_cndmask_b32_e64 v4, 0, 1, s1
	v_lshl_or_b32 v15, v16, 12, v10
	v_cmp_eq_u32_e64 s1, 0x40f, v25
	s_delay_alu instid0(VALU_DEP_4) | instskip(NEXT) | instid1(VALU_DEP_3)
	s_or_b32 vcc_lo, s0, vcc_lo
	v_or_b32_e32 v4, v18, v4
	v_add_co_ci_u32_e32 v14, vcc_lo, 0, v14, vcc_lo
	v_cmp_gt_i32_e32 vcc_lo, 1, v16
	v_mul_f16_e32 v18, v42, v17
	s_delay_alu instid0(VALU_DEP_1) | instskip(SKIP_1) | instid1(VALU_DEP_1)
	v_fmac_f16_e32 v18, v39, v7
	v_mul_f16_e32 v7, v42, v7
	v_fma_f16 v7, v39, v17, -v7
	v_and_or_b32 v20, 0x1ff, v21, v20
	v_lshrrev_b32_e32 v23, 8, v21
	v_bfe_u32 v24, v21, 20, 11
	v_lshrrev_b32_e32 v21, 16, v21
	v_bfe_u32 v26, v13, 20, 11
	v_cndmask_b32_e32 v4, v15, v4, vcc_lo
	v_cmp_ne_u32_e32 vcc_lo, 0, v6
	v_and_or_b32 v12, 0x1ff, v13, v12
	v_cndmask_b32_e64 v6, 0, 1, vcc_lo
	v_cmp_gt_i32_e32 vcc_lo, 31, v25
	v_lshrrev_b32_e32 v25, 8, v13
	v_lshrrev_b32_e32 v13, 16, v13
	s_delay_alu instid0(VALU_DEP_4)
	v_lshl_or_b32 v6, v6, 9, 0x7c00
	v_cndmask_b32_e32 v22, 0x7c00, v14, vcc_lo
	v_cmp_ne_u32_e32 vcc_lo, 0, v20
	v_cvt_f32_f16_e32 v14, v18
	v_and_b32_e32 v18, 7, v4
	v_lshrrev_b32_e32 v4, 2, v4
	v_cndmask_b32_e64 v22, v22, v6, s1
	v_cndmask_b32_e64 v20, 0, 1, vcc_lo
	v_cvt_f64_f32_e32 v[14:15], v14
	v_cmp_lt_i32_e32 vcc_lo, 5, v18
	v_cmp_eq_u32_e64 s0, 3, v18
	s_delay_alu instid0(VALU_DEP_4) | instskip(SKIP_1) | instid1(VALU_DEP_3)
	v_and_or_b32 v18, 0xffe, v23, v20
	v_sub_nc_u32_e32 v20, 0x3f1, v24
	s_or_b32 vcc_lo, s0, vcc_lo
	s_sub_i32 s0, s2, s28
	s_delay_alu instid0(VALU_DEP_2) | instskip(NEXT) | instid1(VALU_DEP_2)
	v_or_b32_e32 v23, 0x1000, v18
	v_med3_i32 v6, v20, 0, 13
	v_add_co_ci_u32_e32 v4, vcc_lo, 0, v4, vcc_lo
	v_cmp_ne_u32_e32 vcc_lo, 0, v10
	v_add_nc_u32_e32 v9, s0, v9
	s_delay_alu instid0(VALU_DEP_4) | instskip(SKIP_2) | instid1(VALU_DEP_3)
	v_lshrrev_b32_e32 v20, v6, v23
	v_cndmask_b32_e64 v10, 0, 1, vcc_lo
	v_cmp_gt_i32_e32 vcc_lo, 31, v16
	v_lshlrev_b32_e32 v17, v6, v20
	v_cvt_f32_f16_e32 v6, v7
	s_delay_alu instid0(VALU_DEP_4) | instskip(SKIP_2) | instid1(VALU_DEP_4)
	v_lshl_or_b32 v10, v10, 9, 0x7c00
	v_cndmask_b32_e32 v4, 0x7c00, v4, vcc_lo
	v_cmp_ne_u32_e32 vcc_lo, 0, v12
	v_cvt_f64_f32_e32 v[6:7], v6
	v_cndmask_b32_e64 v12, 0, 1, vcc_lo
	v_cmp_ne_u32_e32 vcc_lo, v17, v23
	s_delay_alu instid0(VALU_DEP_2)
	v_and_or_b32 v12, 0xffe, v25, v12
	v_cndmask_b32_e64 v17, 0, 1, vcc_lo
	v_cmp_eq_u32_e32 vcc_lo, 0x40f, v16
	v_add_nc_u32_e32 v23, 0xfffffc10, v24
	v_sub_nc_u32_e32 v24, 0x3f1, v26
	v_or_b32_e32 v25, 0x1000, v12
	v_mul_f64 v[14:15], v[14:15], s[26:27]
	v_cndmask_b32_e32 v4, v4, v10, vcc_lo
	v_lshrrev_b32_e32 v10, 16, v11
	v_med3_i32 v24, v24, 0, 13
	v_or_b32_e32 v17, v20, v17
	v_lshl_or_b32 v20, v23, 12, v18
	v_cmp_gt_i32_e32 vcc_lo, 1, v23
	v_and_or_b32 v4, 0x8000, v10, v4
	v_lshrrev_b32_e32 v11, v24, v25
	s_delay_alu instid0(VALU_DEP_4) | instskip(SKIP_1) | instid1(VALU_DEP_3)
	v_cndmask_b32_e32 v16, v20, v17, vcc_lo
	v_lshrrev_b32_e32 v20, 16, v5
	v_lshlrev_b32_e32 v10, v24, v11
	v_and_or_b32 v17, 0x8000, v19, v22
	s_delay_alu instid0(VALU_DEP_4) | instskip(NEXT) | instid1(VALU_DEP_4)
	v_and_b32_e32 v19, 7, v16
	v_mul_f16_e32 v2, v40, v20
	s_delay_alu instid0(VALU_DEP_4)
	v_cmp_ne_u32_e64 s1, v10, v25
	v_lshrrev_b32_e32 v16, 2, v16
	v_and_b32_e32 v17, 0xffff, v17
	v_cmp_lt_i32_e32 vcc_lo, 5, v19
	v_cmp_eq_u32_e64 s0, 3, v19
	v_cndmask_b32_e64 v10, 0, 1, s1
	v_fmac_f16_e32 v2, v37, v5
	v_add_nc_u32_e32 v19, 0xfffffc10, v26
	v_lshl_or_b32 v25, v4, 16, v17
	s_or_b32 vcc_lo, s0, vcc_lo
	v_or_b32_e32 v24, v11, v10
	v_mul_f64 v[10:11], v[6:7], s[26:27]
	v_cvt_f32_f16_e32 v2, v2
	v_add_co_ci_u32_e32 v22, vcc_lo, 0, v16, vcc_lo
	v_cmp_ne_u32_e32 vcc_lo, 0, v18
	v_lshl_or_b32 v6, v19, 12, v12
	s_delay_alu instid0(VALU_DEP_4)
	v_cvt_f64_f32_e32 v[16:17], v2
	v_cmp_eq_u32_e64 s1, 0x40f, v23
	v_mul_f16_e32 v5, v40, v5
	v_cndmask_b32_e64 v4, 0, 1, vcc_lo
	v_cmp_gt_i32_e32 vcc_lo, 1, v19
	v_and_or_b32 v14, 0x1ff, v15, v14
	v_bfe_u32 v26, v15, 20, 11
	v_fma_f16 v20, v37, v20, -v5
	v_lshl_or_b32 v4, v4, 9, 0x7c00
	s_delay_alu instid0(VALU_DEP_4) | instskip(NEXT) | instid1(VALU_DEP_1)
	v_cmp_ne_u32_e64 s0, 0, v14
	v_cndmask_b32_e64 v14, 0, 1, s0
	v_bfe_u32 v27, v11, 20, 11
	v_cndmask_b32_e32 v2, v6, v24, vcc_lo
	v_cmp_gt_i32_e32 vcc_lo, 31, v23
	v_lshrrev_b32_e32 v24, 8, v15
	v_and_or_b32 v10, 0x1ff, v11, v10
	v_lshrrev_b32_e32 v15, 16, v15
	v_cndmask_b32_e32 v18, 0x7c00, v22, vcc_lo
	v_and_b32_e32 v22, 7, v2
	v_add_co_u32 v6, vcc_lo, v8, s25
	v_add_co_ci_u32_e32 v7, vcc_lo, s30, v9, vcc_lo
	s_delay_alu instid0(VALU_DEP_3)
	v_cmp_lt_i32_e32 vcc_lo, 5, v22
	v_cmp_eq_u32_e64 s0, 3, v22
	v_lshrrev_b32_e32 v2, 2, v2
	v_cndmask_b32_e64 v18, v18, v4, s1
	v_and_or_b32 v14, 0xffe, v24, v14
	v_sub_nc_u32_e32 v4, 0x3f1, v26
	s_or_b32 vcc_lo, s0, vcc_lo
	global_store_b32 v[8:9], v0, off
	global_store_b32 v[6:7], v25, off
	v_add_co_ci_u32_e32 v2, vcc_lo, 0, v2, vcc_lo
	v_cmp_ne_u32_e32 vcc_lo, 0, v12
	v_or_b32_e32 v22, 0x1000, v14
	v_med3_i32 v4, v4, 0, 13
	v_and_or_b32 v18, 0x8000, v21, v18
	v_cndmask_b32_e64 v12, 0, 1, vcc_lo
	v_cmp_gt_i32_e32 vcc_lo, 31, v19
	s_delay_alu instid0(VALU_DEP_4) | instskip(NEXT) | instid1(VALU_DEP_3)
	v_lshrrev_b32_e32 v23, v4, v22
	v_lshl_or_b32 v12, v12, 9, 0x7c00
	v_cndmask_b32_e32 v2, 0x7c00, v2, vcc_lo
	v_cmp_ne_u32_e32 vcc_lo, 0, v10
	s_delay_alu instid0(VALU_DEP_4)
	v_lshlrev_b32_e32 v24, v4, v23
	v_mul_f64 v[4:5], v[16:17], s[26:27]
	v_cvt_f32_f16_e32 v16, v20
	v_lshrrev_b32_e32 v20, 8, v11
	v_cndmask_b32_e64 v10, 0, 1, vcc_lo
	v_cmp_eq_u32_e32 vcc_lo, 0x40f, v19
	v_lshrrev_b32_e32 v11, 16, v11
	v_cvt_f64_f32_e32 v[16:17], v16
	s_delay_alu instid0(VALU_DEP_4)
	v_and_or_b32 v10, 0xffe, v20, v10
	v_cndmask_b32_e32 v2, v2, v12, vcc_lo
	v_cmp_ne_u32_e32 vcc_lo, v24, v22
	v_lshrrev_b32_e32 v24, 16, v3
	v_sub_nc_u32_e32 v12, 0x3f1, v27
	v_add_nc_u32_e32 v20, 0xfffffc10, v26
	v_or_b32_e32 v22, 0x1000, v10
	v_cndmask_b32_e64 v19, 0, 1, vcc_lo
	v_mul_f16_e32 v21, v38, v24
	v_med3_i32 v12, v12, 0, 13
	v_and_or_b32 v2, 0x8000, v13, v2
	v_and_b32_e32 v13, 0xffff, v18
	v_or_b32_e32 v19, v23, v19
	v_fmac_f16_e32 v21, v35, v3
	v_lshl_or_b32 v23, v20, 12, v14
	v_lshrrev_b32_e32 v26, v12, v22
	v_cmp_gt_i32_e32 vcc_lo, 1, v20
	v_lshl_or_b32 v0, v2, 16, v13
	v_cvt_f32_f16_e32 v2, v21
	v_add_nc_u32_e32 v21, 0xfffffc10, v27
	v_dual_cndmask_b32 v19, v23, v19 :: v_dual_lshlrev_b32 v12, v12, v26
	v_mul_f16_e32 v3, v38, v3
	s_delay_alu instid0(VALU_DEP_4) | instskip(NEXT) | instid1(VALU_DEP_3)
	v_cvt_f64_f32_e32 v[8:9], v2
	v_cmp_ne_u32_e64 s0, v12, v22
	s_delay_alu instid0(VALU_DEP_4) | instskip(NEXT) | instid1(VALU_DEP_4)
	v_and_b32_e32 v18, 7, v19
	v_fma_f16 v3, v35, v24, -v3
	s_delay_alu instid0(VALU_DEP_3) | instskip(NEXT) | instid1(VALU_DEP_3)
	v_cndmask_b32_e64 v12, 0, 1, s0
	v_cmp_lt_i32_e32 vcc_lo, 5, v18
	v_cmp_eq_u32_e64 s0, 3, v18
	v_and_or_b32 v2, 0x1ff, v5, v4
	v_lshrrev_b32_e32 v4, 2, v19
	v_or_b32_e32 v18, v26, v12
	v_lshl_or_b32 v19, v21, 12, v10
	s_or_b32 vcc_lo, s0, vcc_lo
	v_cmp_ne_u32_e64 s1, 0, v2
	v_add_co_ci_u32_e32 v4, vcc_lo, 0, v4, vcc_lo
	v_mul_f64 v[12:13], v[16:17], s[26:27]
	v_cmp_gt_i32_e32 vcc_lo, 1, v21
	s_delay_alu instid0(VALU_DEP_4)
	v_cndmask_b32_e64 v2, 0, 1, s1
	v_lshrrev_b32_e32 v16, 8, v5
	v_bfe_u32 v17, v5, 20, 11
	v_cmp_eq_u32_e64 s1, 0x40f, v20
	v_cndmask_b32_e32 v18, v19, v18, vcc_lo
	v_cmp_ne_u32_e32 vcc_lo, 0, v14
	v_and_or_b32 v16, 0xffe, v16, v2
	v_sub_nc_u32_e32 v2, 0x3f1, v17
	v_add_nc_u32_e32 v17, 0xfffffc10, v17
	v_and_b32_e32 v19, 7, v18
	v_cndmask_b32_e64 v14, 0, 1, vcc_lo
	v_cmp_gt_i32_e32 vcc_lo, 31, v20
	v_or_b32_e32 v22, 0x1000, v16
	v_med3_i32 v2, v2, 0, 13
	v_cmp_eq_u32_e64 s0, 3, v19
	v_lshl_or_b32 v14, v14, 9, 0x7c00
	v_cndmask_b32_e32 v4, 0x7c00, v4, vcc_lo
	v_cmp_lt_i32_e32 vcc_lo, 5, v19
	v_lshrrev_b32_e32 v18, 2, v18
	v_lshrrev_b32_e32 v23, v2, v22
	v_mul_f64 v[8:9], v[8:9], s[26:27]
	v_cndmask_b32_e64 v4, v4, v14, s1
	s_or_b32 vcc_lo, s0, vcc_lo
	v_lshrrev_b32_e32 v20, 16, v1
	v_add_co_ci_u32_e32 v14, vcc_lo, 0, v18, vcc_lo
	v_lshlrev_b32_e32 v2, v2, v23
	v_cmp_ne_u32_e32 vcc_lo, 0, v10
	v_lshl_or_b32 v18, v17, 12, v16
	v_and_or_b32 v15, 0x8000, v15, v4
	v_cvt_f32_f16_e32 v3, v3
	v_lshrrev_b32_e32 v5, 16, v5
	v_cndmask_b32_e64 v10, 0, 1, vcc_lo
	v_cmp_ne_u32_e32 vcc_lo, v2, v22
	v_and_b32_e32 v15, 0xffff, v15
	v_and_or_b32 v12, 0x1ff, v13, v12
	s_delay_alu instid0(VALU_DEP_4) | instskip(SKIP_3) | instid1(VALU_DEP_3)
	v_lshl_or_b32 v10, v10, 9, 0x7c00
	v_cndmask_b32_e64 v2, 0, 1, vcc_lo
	v_cmp_gt_i32_e32 vcc_lo, 31, v21
	v_bfe_u32 v19, v13, 20, 11
	v_or_b32_e32 v2, v23, v2
	v_cndmask_b32_e32 v14, 0x7c00, v14, vcc_lo
	v_cmp_gt_i32_e32 vcc_lo, 1, v17
	s_delay_alu instid0(VALU_DEP_3)
	v_cndmask_b32_e32 v4, v18, v2, vcc_lo
	v_cmp_ne_u32_e32 vcc_lo, 0, v12
	v_cvt_f64_f32_e32 v[2:3], v3
	v_lshrrev_b32_e32 v18, 8, v13
	v_lshrrev_b32_e32 v13, 16, v13
	v_cndmask_b32_e64 v12, 0, 1, vcc_lo
	v_cmp_eq_u32_e32 vcc_lo, 0x40f, v21
	v_mul_f16_e32 v21, v36, v20
	v_and_or_b32 v8, 0x1ff, v9, v8
	s_delay_alu instid0(VALU_DEP_4) | instskip(SKIP_1) | instid1(VALU_DEP_4)
	v_and_or_b32 v12, 0xffe, v18, v12
	v_sub_nc_u32_e32 v18, 0x3f1, v19
	v_fmac_f16_e32 v21, v34, v1
	v_mul_f16_e32 v1, v36, v1
	v_add_nc_u32_e32 v19, 0xfffffc10, v19
	v_or_b32_e32 v22, 0x1000, v12
	v_med3_i32 v18, v18, 0, 13
	s_delay_alu instid0(VALU_DEP_4)
	v_fma_f16 v1, v34, v20, -v1
	v_bfe_u32 v20, v9, 20, 11
	v_cndmask_b32_e32 v10, v14, v10, vcc_lo
	v_and_b32_e32 v14, 7, v4
	v_lshrrev_b32_e32 v4, 2, v4
	v_lshrrev_b32_e32 v23, v18, v22
	v_lshl_or_b32 v24, v19, 12, v12
	s_delay_alu instid0(VALU_DEP_4) | instskip(SKIP_3) | instid1(VALU_DEP_3)
	v_cmp_lt_i32_e32 vcc_lo, 5, v14
	v_cmp_eq_u32_e64 s0, 3, v14
	v_and_or_b32 v14, 0x8000, v11, v10
	v_cvt_f32_f16_e32 v10, v21
	s_or_b32 vcc_lo, s0, vcc_lo
	s_delay_alu instid0(VALU_DEP_2)
	v_lshl_or_b32 v26, v14, 16, v15
	v_add_co_ci_u32_e32 v21, vcc_lo, 0, v4, vcc_lo
	v_cmp_ne_u32_e32 vcc_lo, 0, v16
	v_lshlrev_b32_e32 v4, v18, v23
	v_lshrrev_b32_e32 v18, 8, v9
	v_cvt_f64_f32_e32 v[10:11], v10
	v_lshrrev_b32_e32 v9, 16, v9
	v_cndmask_b32_e64 v16, 0, 1, vcc_lo
	v_cmp_ne_u32_e32 vcc_lo, 0, v8
	s_delay_alu instid0(VALU_DEP_2) | instskip(SKIP_3) | instid1(VALU_DEP_3)
	v_lshl_or_b32 v16, v16, 9, 0x7c00
	v_cndmask_b32_e64 v8, 0, 1, vcc_lo
	v_cmp_ne_u32_e32 vcc_lo, v4, v22
	v_sub_nc_u32_e32 v22, 0x3f1, v20
	v_and_or_b32 v8, 0xffe, v18, v8
	v_cndmask_b32_e64 v4, 0, 1, vcc_lo
	v_cvt_f32_f16_e32 v18, v1
	v_mul_f64 v[1:2], v[2:3], s[26:27]
	v_cmp_gt_i32_e32 vcc_lo, 31, v17
	v_med3_i32 v22, v22, 0, 13
	v_or_b32_e32 v23, v23, v4
	v_cvt_f64_f32_e32 v[3:4], v18
	v_or_b32_e32 v18, 0x1000, v8
	v_cndmask_b32_e32 v21, 0x7c00, v21, vcc_lo
	v_cmp_gt_i32_e32 vcc_lo, 1, v19
	s_delay_alu instid0(VALU_DEP_3) | instskip(SKIP_3) | instid1(VALU_DEP_3)
	v_lshrrev_b32_e32 v25, v22, v18
	v_cndmask_b32_e32 v23, v24, v23, vcc_lo
	v_add_co_u32 v6, vcc_lo, v6, s25
	v_add_co_ci_u32_e32 v7, vcc_lo, s30, v7, vcc_lo
	v_and_b32_e32 v24, 7, v23
	v_cmp_eq_u32_e32 vcc_lo, 0x40f, v17
	v_add_nc_u32_e32 v17, 0xfffffc10, v20
	v_lshrrev_b32_e32 v14, 2, v23
	v_lshlrev_b32_e32 v22, v22, v25
	v_cmp_eq_u32_e64 s0, 3, v24
	v_cndmask_b32_e32 v16, v21, v16, vcc_lo
	v_cmp_lt_i32_e32 vcc_lo, 5, v24
	v_mul_f64 v[10:11], v[10:11], s[26:27]
	v_cmp_ne_u32_e64 s1, v22, v18
	v_lshl_or_b32 v20, v17, 12, v8
	v_and_or_b32 v5, 0x8000, v5, v16
	s_or_b32 vcc_lo, s0, vcc_lo
	v_add_co_ci_u32_e32 v14, vcc_lo, 0, v14, vcc_lo
	s_delay_alu instid0(VALU_DEP_2)
	v_and_b32_e32 v5, 0xffff, v5
	v_cmp_ne_u32_e32 vcc_lo, 0, v12
	v_cndmask_b32_e64 v15, 0, 1, s1
	v_and_or_b32 v1, 0x1ff, v2, v1
	v_cndmask_b32_e64 v12, 0, 1, vcc_lo
	v_cmp_gt_i32_e32 vcc_lo, 31, v19
	s_delay_alu instid0(VALU_DEP_4)
	v_or_b32_e32 v18, v25, v15
	v_mul_f64 v[3:4], v[3:4], s[26:27]
	v_bfe_u32 v22, v2, 20, 11
	v_lshl_or_b32 v12, v12, 9, 0x7c00
	v_cndmask_b32_e32 v21, 0x7c00, v14, vcc_lo
	v_add_co_u32 v14, vcc_lo, v6, s25
	v_add_co_ci_u32_e32 v15, vcc_lo, s30, v7, vcc_lo
	v_cmp_gt_i32_e32 vcc_lo, 1, v17
	v_and_or_b32 v10, 0x1ff, v11, v10
	v_bfe_u32 v24, v4, 20, 11
	v_cndmask_b32_e32 v18, v20, v18, vcc_lo
	v_cmp_ne_u32_e32 vcc_lo, 0, v1
	v_lshrrev_b32_e32 v20, 8, v2
	v_and_or_b32 v3, 0x1ff, v4, v3
	v_lshrrev_b32_e32 v23, 8, v4
	v_lshrrev_b32_e32 v2, 16, v2
	v_cndmask_b32_e64 v1, 0, 1, vcc_lo
	v_cmp_eq_u32_e32 vcc_lo, 0x40f, v19
	v_and_b32_e32 v19, 7, v18
	v_lshrrev_b32_e32 v18, 2, v18
	v_lshrrev_b32_e32 v4, 16, v4
	v_and_or_b32 v1, 0xffe, v20, v1
	v_cndmask_b32_e32 v12, v21, v12, vcc_lo
	v_sub_nc_u32_e32 v20, 0x3f1, v22
	v_cmp_lt_i32_e32 vcc_lo, 5, v19
	v_cmp_eq_u32_e64 s0, 3, v19
	v_bfe_u32 v21, v11, 20, 11
	v_and_or_b32 v12, 0x8000, v13, v12
	v_or_b32_e32 v13, 0x1000, v1
	v_med3_i32 v16, v20, 0, 13
	s_or_b32 vcc_lo, s0, vcc_lo
	v_lshrrev_b32_e32 v20, 8, v11
	v_add_co_ci_u32_e32 v18, vcc_lo, 0, v18, vcc_lo
	s_delay_alu instid0(VALU_DEP_3) | instskip(SKIP_3) | instid1(VALU_DEP_4)
	v_lshrrev_b32_e32 v19, v16, v13
	v_cmp_ne_u32_e32 vcc_lo, 0, v10
	v_lshrrev_b32_e32 v11, 16, v11
	v_lshl_or_b32 v5, v12, 16, v5
	v_lshlrev_b32_e32 v16, v16, v19
	v_cndmask_b32_e64 v10, 0, 1, vcc_lo
	v_cmp_ne_u32_e32 vcc_lo, 0, v8
	s_delay_alu instid0(VALU_DEP_2)
	v_and_or_b32 v10, 0xffe, v20, v10
	v_cndmask_b32_e64 v8, 0, 1, vcc_lo
	v_cmp_ne_u32_e32 vcc_lo, v16, v13
	v_sub_nc_u32_e32 v20, 0x3f1, v21
	v_add_nc_u32_e32 v16, 0xfffffc10, v22
	v_or_b32_e32 v22, 0x1000, v10
	v_lshl_or_b32 v8, v8, 9, 0x7c00
	v_cndmask_b32_e64 v13, 0, 1, vcc_lo
	v_cmp_gt_i32_e32 vcc_lo, 31, v17
	v_med3_i32 v20, v20, 0, 13
	s_delay_alu instid0(VALU_DEP_3)
	v_or_b32_e32 v13, v19, v13
	v_cndmask_b32_e32 v18, 0x7c00, v18, vcc_lo
	v_cmp_ne_u32_e32 vcc_lo, 0, v3
	v_lshl_or_b32 v19, v16, 12, v1
	v_lshrrev_b32_e32 v25, v20, v22
	v_cndmask_b32_e64 v3, 0, 1, vcc_lo
	v_cmp_gt_i32_e32 vcc_lo, 1, v16
	s_delay_alu instid0(VALU_DEP_2)
	v_and_or_b32 v3, 0xffe, v23, v3
	v_sub_nc_u32_e32 v23, 0x3f1, v24
	v_cndmask_b32_e32 v13, v19, v13, vcc_lo
	v_lshlrev_b32_e32 v19, v20, v25
	v_cmp_eq_u32_e32 vcc_lo, 0x40f, v17
	v_or_b32_e32 v20, 0x1000, v3
	v_med3_i32 v23, v23, 0, 13
	v_and_b32_e32 v27, 7, v13
	v_lshrrev_b32_e32 v13, 2, v13
	v_cndmask_b32_e32 v8, v18, v8, vcc_lo
	v_cmp_ne_u32_e32 vcc_lo, v19, v22
	v_add_nc_u32_e32 v18, 0xfffffc10, v21
	v_lshrrev_b32_e32 v19, v23, v20
	v_cmp_eq_u32_e64 s0, 3, v27
	v_and_or_b32 v8, 0x8000, v9, v8
	v_cndmask_b32_e64 v17, 0, 1, vcc_lo
	v_lshl_or_b32 v21, v18, 12, v10
	v_lshlrev_b32_e32 v22, v23, v19
	v_cmp_gt_i32_e64 s1, 1, v18
	v_cmp_lt_i32_e32 vcc_lo, 5, v27
	v_or_b32_e32 v17, v25, v17
	v_and_b32_e32 v8, 0xffff, v8
	s_or_b32 vcc_lo, s0, vcc_lo
	s_delay_alu instid0(VALU_DEP_2) | instskip(SKIP_3) | instid1(VALU_DEP_4)
	v_cndmask_b32_e64 v17, v21, v17, s1
	v_cmp_ne_u32_e64 s1, v22, v20
	v_add_nc_u32_e32 v21, 0xfffffc10, v24
	v_add_co_ci_u32_e32 v13, vcc_lo, 0, v13, vcc_lo
	v_and_b32_e32 v22, 7, v17
	s_delay_alu instid0(VALU_DEP_4)
	v_cndmask_b32_e64 v20, 0, 1, s1
	v_cmp_ne_u32_e32 vcc_lo, 0, v1
	v_cmp_gt_i32_e64 s0, 1, v21
	v_lshrrev_b32_e32 v17, 2, v17
	v_cmp_gt_i32_e64 s1, 31, v16
	v_or_b32_e32 v19, v19, v20
	v_lshl_or_b32 v20, v21, 12, v3
	v_cndmask_b32_e64 v1, 0, 1, vcc_lo
	v_cmp_lt_i32_e32 vcc_lo, 5, v22
	v_cndmask_b32_e64 v13, 0x7c00, v13, s1
	v_cmp_eq_u32_e64 s1, 0x40f, v16
	v_cndmask_b32_e64 v9, v20, v19, s0
	v_cmp_eq_u32_e64 s0, 3, v22
	v_lshl_or_b32 v1, v1, 9, 0x7c00
	s_delay_alu instid0(VALU_DEP_3) | instskip(NEXT) | instid1(VALU_DEP_3)
	v_and_b32_e32 v19, 7, v9
	s_or_b32 vcc_lo, s0, vcc_lo
	v_lshrrev_b32_e32 v9, 2, v9
	v_add_co_ci_u32_e32 v17, vcc_lo, 0, v17, vcc_lo
	v_cmp_ne_u32_e32 vcc_lo, 0, v10
	v_cmp_eq_u32_e64 s0, 3, v19
	v_cndmask_b32_e64 v1, v13, v1, s1
	v_cmp_gt_i32_e64 s1, 31, v18
	v_cndmask_b32_e64 v10, 0, 1, vcc_lo
	v_cmp_lt_i32_e32 vcc_lo, 5, v19
	s_delay_alu instid0(VALU_DEP_4) | instskip(NEXT) | instid1(VALU_DEP_4)
	v_and_or_b32 v12, 0x8000, v2, v1
	v_cndmask_b32_e64 v13, 0x7c00, v17, s1
	s_delay_alu instid0(VALU_DEP_4)
	v_lshl_or_b32 v10, v10, 9, 0x7c00
	s_or_b32 vcc_lo, s0, vcc_lo
	v_add_co_ci_u32_e32 v9, vcc_lo, 0, v9, vcc_lo
	v_cmp_ne_u32_e32 vcc_lo, 0, v3
	v_cndmask_b32_e64 v3, 0, 1, vcc_lo
	v_cmp_eq_u32_e32 vcc_lo, 0x40f, v18
	s_delay_alu instid0(VALU_DEP_2) | instskip(SKIP_2) | instid1(VALU_DEP_2)
	v_lshl_or_b32 v3, v3, 9, 0x7c00
	v_cndmask_b32_e32 v10, v13, v10, vcc_lo
	v_cmp_gt_i32_e32 vcc_lo, 31, v21
	v_and_or_b32 v10, 0x8000, v11, v10
	v_cndmask_b32_e32 v9, 0x7c00, v9, vcc_lo
	v_cmp_eq_u32_e32 vcc_lo, 0x40f, v21
	v_lshl_or_b32 v11, v12, 16, v8
	s_delay_alu instid0(VALU_DEP_3) | instskip(SKIP_3) | instid1(VALU_DEP_4)
	v_cndmask_b32_e32 v3, v9, v3, vcc_lo
	v_and_b32_e32 v9, 0xffff, v10
	v_add_co_u32 v1, vcc_lo, v14, s25
	v_add_co_ci_u32_e32 v2, vcc_lo, s30, v15, vcc_lo
	v_and_or_b32 v8, 0x8000, v4, v3
	s_delay_alu instid0(VALU_DEP_3) | instskip(NEXT) | instid1(VALU_DEP_3)
	v_add_co_u32 v3, vcc_lo, v1, s25
	v_add_co_ci_u32_e32 v4, vcc_lo, s30, v2, vcc_lo
	s_delay_alu instid0(VALU_DEP_3) | instskip(NEXT) | instid1(VALU_DEP_3)
	v_lshl_or_b32 v10, v8, 16, v9
	v_add_co_u32 v8, vcc_lo, v3, s25
	s_delay_alu instid0(VALU_DEP_3)
	v_add_co_ci_u32_e32 v9, vcc_lo, s30, v4, vcc_lo
	global_store_b32 v[6:7], v0, off
	global_store_b32 v[14:15], v26, off
	;; [unrolled: 1-line block ×5, first 2 shown]
.LBB0_2:
	s_nop 0
	s_sendmsg sendmsg(MSG_DEALLOC_VGPRS)
	s_endpgm
	.section	.rodata,"a",@progbits
	.p2align	6, 0x0
	.amdhsa_kernel bluestein_single_back_len686_dim1_half_op_CI_CI
		.amdhsa_group_segment_fixed_size 2744
		.amdhsa_private_segment_fixed_size 0
		.amdhsa_kernarg_size 104
		.amdhsa_user_sgpr_count 15
		.amdhsa_user_sgpr_dispatch_ptr 0
		.amdhsa_user_sgpr_queue_ptr 0
		.amdhsa_user_sgpr_kernarg_segment_ptr 1
		.amdhsa_user_sgpr_dispatch_id 0
		.amdhsa_user_sgpr_private_segment_size 0
		.amdhsa_wavefront_size32 1
		.amdhsa_uses_dynamic_stack 0
		.amdhsa_enable_private_segment 0
		.amdhsa_system_sgpr_workgroup_id_x 1
		.amdhsa_system_sgpr_workgroup_id_y 0
		.amdhsa_system_sgpr_workgroup_id_z 0
		.amdhsa_system_sgpr_workgroup_info 0
		.amdhsa_system_vgpr_workitem_id 0
		.amdhsa_next_free_vgpr 117
		.amdhsa_next_free_sgpr 32
		.amdhsa_reserve_vcc 1
		.amdhsa_float_round_mode_32 0
		.amdhsa_float_round_mode_16_64 0
		.amdhsa_float_denorm_mode_32 3
		.amdhsa_float_denorm_mode_16_64 3
		.amdhsa_dx10_clamp 1
		.amdhsa_ieee_mode 1
		.amdhsa_fp16_overflow 0
		.amdhsa_workgroup_processor_mode 1
		.amdhsa_memory_ordered 1
		.amdhsa_forward_progress 0
		.amdhsa_shared_vgpr_count 0
		.amdhsa_exception_fp_ieee_invalid_op 0
		.amdhsa_exception_fp_denorm_src 0
		.amdhsa_exception_fp_ieee_div_zero 0
		.amdhsa_exception_fp_ieee_overflow 0
		.amdhsa_exception_fp_ieee_underflow 0
		.amdhsa_exception_fp_ieee_inexact 0
		.amdhsa_exception_int_div_zero 0
	.end_amdhsa_kernel
	.text
.Lfunc_end0:
	.size	bluestein_single_back_len686_dim1_half_op_CI_CI, .Lfunc_end0-bluestein_single_back_len686_dim1_half_op_CI_CI
                                        ; -- End function
	.section	.AMDGPU.csdata,"",@progbits
; Kernel info:
; codeLenInByte = 20128
; NumSgprs: 34
; NumVgprs: 117
; ScratchSize: 0
; MemoryBound: 0
; FloatMode: 240
; IeeeMode: 1
; LDSByteSize: 2744 bytes/workgroup (compile time only)
; SGPRBlocks: 4
; VGPRBlocks: 14
; NumSGPRsForWavesPerEU: 34
; NumVGPRsForWavesPerEU: 117
; Occupancy: 12
; WaveLimiterHint : 1
; COMPUTE_PGM_RSRC2:SCRATCH_EN: 0
; COMPUTE_PGM_RSRC2:USER_SGPR: 15
; COMPUTE_PGM_RSRC2:TRAP_HANDLER: 0
; COMPUTE_PGM_RSRC2:TGID_X_EN: 1
; COMPUTE_PGM_RSRC2:TGID_Y_EN: 0
; COMPUTE_PGM_RSRC2:TGID_Z_EN: 0
; COMPUTE_PGM_RSRC2:TIDIG_COMP_CNT: 0
	.text
	.p2alignl 7, 3214868480
	.fill 96, 4, 3214868480
	.type	__hip_cuid_14827b49922013e2,@object ; @__hip_cuid_14827b49922013e2
	.section	.bss,"aw",@nobits
	.globl	__hip_cuid_14827b49922013e2
__hip_cuid_14827b49922013e2:
	.byte	0                               ; 0x0
	.size	__hip_cuid_14827b49922013e2, 1

	.ident	"AMD clang version 19.0.0git (https://github.com/RadeonOpenCompute/llvm-project roc-6.4.0 25133 c7fe45cf4b819c5991fe208aaa96edf142730f1d)"
	.section	".note.GNU-stack","",@progbits
	.addrsig
	.addrsig_sym __hip_cuid_14827b49922013e2
	.amdgpu_metadata
---
amdhsa.kernels:
  - .args:
      - .actual_access:  read_only
        .address_space:  global
        .offset:         0
        .size:           8
        .value_kind:     global_buffer
      - .actual_access:  read_only
        .address_space:  global
        .offset:         8
        .size:           8
        .value_kind:     global_buffer
      - .actual_access:  read_only
        .address_space:  global
        .offset:         16
        .size:           8
        .value_kind:     global_buffer
      - .actual_access:  read_only
        .address_space:  global
        .offset:         24
        .size:           8
        .value_kind:     global_buffer
      - .actual_access:  read_only
        .address_space:  global
        .offset:         32
        .size:           8
        .value_kind:     global_buffer
      - .offset:         40
        .size:           8
        .value_kind:     by_value
      - .address_space:  global
        .offset:         48
        .size:           8
        .value_kind:     global_buffer
      - .address_space:  global
        .offset:         56
        .size:           8
        .value_kind:     global_buffer
      - .address_space:  global
        .offset:         64
        .size:           8
        .value_kind:     global_buffer
      - .address_space:  global
        .offset:         72
        .size:           8
        .value_kind:     global_buffer
      - .offset:         80
        .size:           4
        .value_kind:     by_value
      - .address_space:  global
        .offset:         88
        .size:           8
        .value_kind:     global_buffer
      - .address_space:  global
        .offset:         96
        .size:           8
        .value_kind:     global_buffer
    .group_segment_fixed_size: 2744
    .kernarg_segment_align: 8
    .kernarg_segment_size: 104
    .language:       OpenCL C
    .language_version:
      - 2
      - 0
    .max_flat_workgroup_size: 49
    .name:           bluestein_single_back_len686_dim1_half_op_CI_CI
    .private_segment_fixed_size: 0
    .sgpr_count:     34
    .sgpr_spill_count: 0
    .symbol:         bluestein_single_back_len686_dim1_half_op_CI_CI.kd
    .uniform_work_group_size: 1
    .uses_dynamic_stack: false
    .vgpr_count:     117
    .vgpr_spill_count: 0
    .wavefront_size: 32
    .workgroup_processor_mode: 1
amdhsa.target:   amdgcn-amd-amdhsa--gfx1100
amdhsa.version:
  - 1
  - 2
...

	.end_amdgpu_metadata
